;; amdgpu-corpus repo=ROCm/aiter kind=harvested arch=n/a opt=n/a

/root/src/amdgpu-assembly/repos/ROCm__aiter/hsa/gfx950/fmoe_2stages/fmoe_stage1_bf16_pertokenFp8_doweight_g1u1_32x64_4tg_pf2.co:	file format elf64-amdgpu

Disassembly of section .text:

0000000000002a00 <_ZN5aiter56fmoe_stage1_bf16_pertokenFp8_doweight_g1u1_32x64_4tg_pf2E>:
	s_and_b32 s1, s1, 0xffff                                   // 000000002A00: 8601FF01 0000FFFF
	s_load_dwordx2 s[8:9], s[0:1], 0x0                         // 000000002A08: C0060200 00000000
	s_load_dwordx2 s[20:21], s[0:1], 0x10                      // 000000002A10: C0060500 00000010
	s_load_dwordx2 s[24:25], s[0:1], 0x20                      // 000000002A18: C0060600 00000020
	s_load_dwordx2 s[48:49], s[0:1], 0x30                      // 000000002A20: C0060C00 00000030
	s_load_dwordx2 s[28:29], s[0:1], 0x40                      // 000000002A28: C0060700 00000040
	s_load_dwordx2 s[32:33], s[0:1], 0x50                      // 000000002A30: C0060800 00000050
	s_load_dwordx2 s[36:37], s[0:1], 0x60                      // 000000002A38: C0060900 00000060
	s_load_dwordx2 s[12:13], s[0:1], 0x70                      // 000000002A40: C0060300 00000070
	s_load_dwordx2 s[44:45], s[0:1], 0x80                      // 000000002A48: C0060B00 00000080
	s_mov_b32 s89, 0                                           // 000000002A50: BED90080
	s_load_dword s64, s[0:1], 0x90                             // 000000002A54: C0021000 00000090
	s_load_dword s65, s[0:1], 0xa0                             // 000000002A5C: C0021040 000000A0
	s_load_dword s66, s[0:1], 0xb0                             // 000000002A64: C0021080 000000B0
	s_load_dword s67, s[0:1], 0xc0                             // 000000002A6C: C00210C0 000000C0
	s_load_dword s68, s[0:1], 0xd0                             // 000000002A74: C0021100 000000D0
	s_load_dword s69, s[0:1], 0xe0                             // 000000002A7C: C0021140 000000E0
	s_load_dword s71, s[0:1], 0xf0                             // 000000002A84: C00211C0 000000F0
	s_load_dword s72, s[0:1], 0x100                            // 000000002A8C: C0021200 00000100
	s_load_dword s74, s[0:1], 0x110                            // 000000002A94: C0021280 00000110
	s_load_dword s76, s[0:1], 0x120                            // 000000002A9C: C0021300 00000120
	s_load_dword s56, s[0:1], 0x130                            // 000000002AA4: C0020E00 00000130
	s_load_dword s88, s[0:1], 0x140                            // 000000002AAC: C0021600 00000140
	s_load_dword s89, s[0:1], 0x150                            // 000000002AB4: C0021640 00000150
	s_load_dwordx2 s[40:41], s[0:1], 0x160                     // 000000002ABC: C0060A00 00000160
	v_lshrrev_b32_e32 v1, 10, v0                               // 000000002AC4: 2002008A
	v_lshrrev_b32_e32 v2, 10, v1                               // 000000002AC8: 2004028A
	v_and_b32_e32 v2, 0x3ff, v2                                // 000000002ACC: 260404FF 000003FF
	v_and_b32_e32 v1, 0x3ff, v1                                // 000000002AD4: 260202FF 000003FF
	v_and_b32_e32 v0, 0x3ff, v0                                // 000000002ADC: 260000FF 000003FF
	v_lshrrev_b32_e32 v3, 6, v0                                // 000000002AE4: 20060086
	v_and_b32_e32 v0, 63, v0                                   // 000000002AE8: 260000BF
	s_mov_b32 s2, s2                                           // 000000002AEC: BE820002
	s_mov_b32 s3, s3                                           // 000000002AF0: BE830003
	s_mov_b32 s4, s4                                           // 000000002AF4: BE840004
	v_readfirstlane_b32 s7, v3                                 // 000000002AF8: 7E0E0503
	s_waitcnt lgkmcnt(0)                                       // 000000002AFC: BF8CC07F
	s_and_b32 s49, s49, 0xffff                                 // 000000002B00: 8631FF31 0000FFFF
	s_load_dword s48, s[48:49], 0x0                            // 000000002B08: C0020C18 00000000
	s_and_b32 s45, s45, 0xffff                                 // 000000002B10: 862DFF2D 0000FFFF
	s_and_b32 s9, s9, 0xffff                                   // 000000002B18: 8609FF09 0000FFFF
	s_mul_i32 s60, s66, s68                                    // 000000002B20: 923C4442
	s_mul_i32 s61, s66, 4                                      // 000000002B24: 923D8442
	s_mov_b32 s22, s60                                         // 000000002B28: BE96003C
	s_mov_b32 s26, -16                                         // 000000002B2C: BE9A00D0
	s_mov_b32 s30, s61                                         // 000000002B30: BE9E003D
	s_mov_b32 s14, 0x80                                        // 000000002B34: BE8E00FF 00000080
	s_mov_b32 s38, -16                                         // 000000002B3C: BEA600D0
	s_mov_b32 s10, -16                                         // 000000002B40: BE8A00D0
	s_mov_b32 s34, 0x100                                       // 000000002B44: BEA200FF 00000100
	s_mov_b32 s23, 0x20000                                     // 000000002B4C: BE9700FF 00020000
	s_mov_b32 s27, 0x20000                                     // 000000002B54: BE9B00FF 00020000
	s_mov_b32 s31, 0x20000                                     // 000000002B5C: BE9F00FF 00020000
	s_mov_b32 s35, 0x20000                                     // 000000002B64: BEA300FF 00020000
	s_mov_b32 s15, 0x20000                                     // 000000002B6C: BE8F00FF 00020000
	s_mov_b32 s39, 0x20000                                     // 000000002B74: BEA700FF 00020000
	s_mov_b32 s11, 0x20000                                     // 000000002B7C: BE8B00FF 00020000
	s_and_b32 s21, s21, 0xffff                                 // 000000002B84: 8615FF15 0000FFFF
	s_and_b32 s25, s25, 0xffff                                 // 000000002B8C: 8619FF19 0000FFFF
	s_and_b32 s29, s29, 0xffff                                 // 000000002B94: 861DFF1D 0000FFFF
	s_and_b32 s33, s33, 0xffff                                 // 000000002B9C: 8621FF21 0000FFFF
	s_and_b32 s13, s13, 0xffff                                 // 000000002BA4: 860DFF0D 0000FFFF
	s_and_b32 s37, s37, 0xffff                                 // 000000002BAC: 8625FF25 0000FFFF
	s_or_b32 s21, s21, 0x40000                                 // 000000002BB4: 8715FF15 00040000
	s_or_b32 s25, s25, 0x40000                                 // 000000002BBC: 8719FF19 00040000
	s_or_b32 s29, s29, 0x40000                                 // 000000002BC4: 871DFF1D 00040000
	s_or_b32 s33, s33, 0x40000                                 // 000000002BCC: 8721FF21 00040000
	s_or_b32 s13, s13, 0x40000                                 // 000000002BD4: 870DFF0D 00040000
	s_or_b32 s37, s37, 0x40000                                 // 000000002BDC: 8725FF25 00040000
	s_mov_b32 s42, -16                                         // 000000002BE4: BEAA00D0
	s_mov_b32 s43, 0x20000                                     // 000000002BE8: BEAB00FF 00020000
	s_and_b32 s41, s41, 0xffff                                 // 000000002BF0: 8629FF29 0000FFFF
	s_or_b32 s41, s41, 0x40000                                 // 000000002BF8: 8729FF29 00040000
	v_accvgpr_write_b32 a47, 0                                 // 000000002C00: D3D9402F 18000080
	v_mov_b32_e32 v61, 0                                       // 000000002C08: 7E7A0280
	s_waitcnt lgkmcnt(0)                                       // 000000002C0C: BF8CC07F
	s_mul_i32 s60, s3, 32                                      // 000000002C10: 923CA003
	s_cmp_lt_i32 s60, s48                                      // 000000002C14: BF04303C
	s_cbranch_scc0 label_0A60                                  // 000000002C18: BF8409D6
	s_mov_b32 s80, 0                                           // 000000002C1C: BED00080
	s_lshr_b32 s81, s64, s88                                   // 000000002C20: 8F515840
	s_mul_i32 s60, s3, 4                                       // 000000002C24: 923C8403
	s_add_u32 s44, s60, s44                                    // 000000002C28: 802C2C3C
	s_addc_u32 s45, 0, s45                                     // 000000002C2C: 822D2D80
	s_load_dword s5, s[44:45], 0x0                             // 000000002C30: C0020156 00000000
	s_mul_i32 s60, s3, 32                                      // 000000002C38: 923CA003
	s_mul_i32 s60, 4, s60                                      // 000000002C3C: 923C3C84
	s_add_u32 s12, s60, s12                                    // 000000002C40: 800C0C3C
	s_addc_u32 s13, 0, s13                                     // 000000002C44: 820D0D80
	v_and_b32_e32 v4, 15, v0                                   // 000000002C48: 2608008F
	v_lshlrev_b32_e32 v4, 2, v4                                // 000000002C4C: 24080882
	buffer_load_dword v28, v4, s[12:15], 0 offen               // 000000002C50: E0501000 80031C04
	v_add_u32_e32 v4, 64, v4                                   // 000000002C58: 680808C0
	buffer_load_dword v29, v4, s[12:15], 0 offen               // 000000002C5C: E0501000 80031D04
	v_add_u32_e32 v4, 64, v4                                   // 000000002C64: 680808C0
	s_mul_i32 s60, 4, s7                                       // 000000002C68: 923C0784
	v_lshlrev_b32_e32 v4, 4, v0                                // 000000002C6C: 24080084
	v_add_u32_e32 v4, s60, v4                                  // 000000002C70: 6808083C
	buffer_load_dword v3, v4, s[12:15], 0 offen                // 000000002C74: E0501000 80030304
	v_mov_b32_e32 v44, 0                                       // 000000002C7C: 7E580280
	v_mov_b32_e32 v52, 0                                       // 000000002C80: 7E680280
	v_mov_b32_e32 v45, 0                                       // 000000002C84: 7E5A0280
	v_mov_b32_e32 v53, 0                                       // 000000002C88: 7E6A0280
	v_mov_b32_e32 v46, 0                                       // 000000002C8C: 7E5C0280
	v_mov_b32_e32 v54, 0                                       // 000000002C90: 7E6C0280
	v_mov_b32_e32 v47, 0                                       // 000000002C94: 7E5E0280
	v_mov_b32_e32 v55, 0                                       // 000000002C98: 7E6E0280
	v_mov_b32_e32 v48, 0                                       // 000000002C9C: 7E600280
	v_mov_b32_e32 v56, 0                                       // 000000002CA0: 7E700280
	v_mov_b32_e32 v49, 0                                       // 000000002CA4: 7E620280
	v_mov_b32_e32 v57, 0                                       // 000000002CA8: 7E720280
	v_mov_b32_e32 v50, 0                                       // 000000002CAC: 7E640280
	v_mov_b32_e32 v58, 0                                       // 000000002CB0: 7E740280
	v_mov_b32_e32 v51, 0                                       // 000000002CB4: 7E660280
	v_mov_b32_e32 v59, 0                                       // 000000002CB8: 7E760280
	s_mul_i32 s60, s2, 0x80                                    // 000000002CBC: 923CFF02 00000080
	s_cmp_eq_u32 s88, 0                                        // 000000002CC4: BF068058
	s_cselect_b32 s61, 1, 2                                    // 000000002CC8: 853D8281
	s_mul_i32 s60, s60, s61                                    // 000000002CCC: 923C3D3C
	s_mov_b32 s90, s8                                          // 000000002CD0: BEDA0008
	s_mov_b32 s91, s9                                          // 000000002CD4: BEDB0009
	s_add_u32 s8, s60, s8                                      // 000000002CD8: 8008083C
	s_addc_u32 s9, 0, s9                                       // 000000002CDC: 82090980
	v_lshrrev_b32_e32 v4, 4, v0                                // 000000002CE0: 20080084
	v_mul_lo_u32 v20, 34, v4                                   // 000000002CE4: D2850014 000208A2
	v_and_b32_e32 v4, 15, v0                                   // 000000002CEC: 2608008F
	v_mul_lo_u32 v5, 2, v4                                     // 000000002CF0: D2850005 00020882
	v_add_u32_e32 v20, v5, v20                                 // 000000002CF8: 68282905
	s_mul_i32 s60, s7, 0x88                                    // 000000002CFC: 923CFF07 00000088
	v_add_u32_e32 v20, s60, v20                                // 000000002D04: 6828283C
	v_lshlrev_b32_e32 v20, 2, v20                              // 000000002D08: 24282882
	v_and_b32_e32 v4, 31, v0                                   // 000000002D0C: 2608009F
	v_lshrrev_b32_e32 v4, 1, v4                                // 000000002D10: 20080881
	v_mul_lo_u32 v21, 34, v4                                   // 000000002D14: D2850015 000208A2
	v_lshrrev_b32_e32 v4, 5, v0                                // 000000002D1C: 20080085
	v_mul_lo_u32 v4, 8, v4                                     // 000000002D20: D2850004 00020888
	v_add_u32_e32 v21, v21, v4                                 // 000000002D28: 682A0915
	v_and_b32_e32 v5, 1, v0                                    // 000000002D2C: 260A0081
	v_add_u32_e32 v21, v5, v21                                 // 000000002D30: 682A2B05
	s_mul_i32 s60, s7, 2                                       // 000000002D34: 923C8207
	v_add_u32_e32 v21, s60, v21                                // 000000002D38: 682A2A3C
	v_lshlrev_b32_e32 v21, 2, v21                              // 000000002D3C: 242A2A82
	s_mul_i32 s60, s7, 0x420                                   // 000000002D40: 923CFF07 00000420
	s_add_u32 s48, 0, s60                                      // 000000002D48: 80303C80
	s_add_u32 s49, 0x1080, s48                                 // 000000002D4C: 803130FF 00001080
	v_lshrrev_b32_e32 v4, 4, v0                                // 000000002D54: 20080084
	v_lshlrev_b32_e32 v5, 2, v4                                // 000000002D58: 240A0882
	v_and_b32_e32 v4, 15, v0                                   // 000000002D5C: 2608008F
	v_lshrrev_b32_e32 v6, 2, v4                                // 000000002D60: 200C0882
	v_lshlrev_b32_e32 v6, 5, v6                                // 000000002D64: 240C0C85
	v_add_u32_e32 v5, v6, v5                                   // 000000002D68: 680A0B06
	v_and_b32_e32 v4, 3, v0                                    // 000000002D6C: 26080083
	v_mul_u32_u24_e32 v6, 0x108, v4                            // 000000002D70: 100C08FF 00000108
	v_add_u32_e32 v5, v6, v5                                   // 000000002D78: 680A0B06
	v_lshlrev_b32_e32 v2, 2, v5                                // 000000002D7C: 24040A82
	s_waitcnt lgkmcnt(0)                                       // 000000002D80: BF8CC07F
	s_mul_i32 s60, s2, 64                                      // 000000002D84: 923CC002
	s_mul_i32 s60, s60, s69                                    // 000000002D88: 923C453C
	s_mul_i32 s61, s5, s72                                     // 000000002D8C: 923D4805
	s_add_u32 s60, s61, s60                                    // 000000002D90: 803C3C3D
	s_add_u32 s24, s60, s24                                    // 000000002D94: 8018183C
	s_addc_u32 s25, 0, s25                                     // 000000002D98: 82191980
	s_lshr_b32 s60, s64, s88                                   // 000000002D9C: 8F3C5840
	s_mul_i32 s60, s4, s60                                     // 000000002DA0: 923C3C04
	s_lshr_b32 s60, s60, 7                                     // 000000002DA4: 8F3C873C
	s_mul_i32 s60, s60, 0x800                                  // 000000002DA8: 923CFF3C 00000800
	s_add_u32 s24, s60, s24                                    // 000000002DB0: 8018183C
	s_addc_u32 s25, 0, s25                                     // 000000002DB4: 82191980
	s_lshr_b32 s60, s69, s88                                   // 000000002DB8: 8F3C5845
	s_mul_i32 s60, s4, s60                                     // 000000002DBC: 923C3C04
	s_add_u32 s20, s60, s20                                    // 000000002DC0: 8014143C
	s_addc_u32 s21, 0, s21                                     // 000000002DC4: 82151580
	s_mul_i32 s60, s7, 16                                      // 000000002DC8: 923C9007
	s_mul_i32 s60, s60, s69                                    // 000000002DCC: 923C453C
	v_lshlrev_b32_e32 v40, 4, v0                               // 000000002DD0: 24500084
	v_add_u32_e32 v40, s60, v40                                // 000000002DD4: 6850503C
	s_mul_i32 s60, 64, s69                                     // 000000002DD8: 923C45C0
	s_mov_b32 s84, s24                                         // 000000002DDC: BED40018
	s_mov_b32 s85, s25                                         // 000000002DE0: BED50019
	s_mov_b32 s86, s26                                         // 000000002DE4: BED6001A
	s_mov_b32 s87, s27                                         // 000000002DE8: BED7001B
	s_mul_i32 s60, s69, s65                                    // 000000002DEC: 923C4145
	s_add_u32 s84, s60, s84                                    // 000000002DF0: 8054543C
	s_addc_u32 s85, 0, s85                                     // 000000002DF4: 82555580
	v_lshrrev_b32_e32 v4, 4, v0                                // 000000002DF8: 20080084
	v_lshlrev_b32_e32 v5, 2, v4                                // 000000002DFC: 240A0882
	v_and_b32_e32 v4, 15, v0                                   // 000000002E00: 2608008F
	v_lshrrev_b32_e32 v6, 2, v4                                // 000000002E04: 200C0882
	v_lshlrev_b32_e32 v6, 6, v6                                // 000000002E08: 240C0C86
	v_add_u32_e32 v5, v6, v5                                   // 000000002E0C: 680A0B06
	v_and_b32_e32 v4, 3, v0                                    // 000000002E10: 26080083
	v_add_u32_e32 v5, v4, v5                                   // 000000002E14: 680A0B04
	v_lshlrev_b32_e32 v22, 2, v5                               // 000000002E18: 242C0A82
	s_mul_i32 s60, s7, 16                                      // 000000002E1C: 923C9007
	s_mul_i32 s60, s60, 4                                      // 000000002E20: 923C843C
	v_add_u32_e32 v22, s60, v22                                // 000000002E24: 682C2C3C
	s_mul_i32 s60, s2, 64                                      // 000000002E28: 923CC002
	s_mul_i32 s60, s60, 4                                      // 000000002E2C: 923C843C
	s_mul_i32 s61, s5, s74                                     // 000000002E30: 923D4A05
	s_add_u32 s61, s61, s60                                    // 000000002E34: 803D3C3D
	s_add_u32 s32, s61, s32                                    // 000000002E38: 8020203D
	s_addc_u32 s33, 0, s33                                     // 000000002E3C: 82212180
	s_mov_b32 s57, 0x80                                        // 000000002E40: BEB900FF 00000080
	s_mov_b32 s58, 0x800                                       // 000000002E48: BEBA00FF 00000800
	s_mov_b32 s83, s58                                         // 000000002E50: BED3003A
	s_mov_b32 s52, 0x7060302                                   // 000000002E54: BEB400FF 07060302
	s_mov_b32 s53, 0x400                                       // 000000002E5C: BEB500FF 00000400
	s_mov_b32 s54, 0x40100                                     // 000000002E64: BEB600FF 00040100
	s_mov_b32 s55, 0x4020100                                   // 000000002E6C: BEB700FF 04020100
	s_mov_b32 s6, 0x3fb8aa3b                                   // 000000002E74: BE8600FF 3FB8AA3B
	s_mov_b32 s78, 0xbd92220c                                  // 000000002E7C: BECE00FF BD92220C
	s_mov_b32 s79, 0xbd92220c                                  // 000000002E84: BECF00FF BD92220C
	s_mov_b32 m0, s48                                          // 000000002E8C: BEFC0030
	v_mov_b32_e32 v1, 0xbfcc4231                               // 000000002E90: 7E0202FF BFCC4231
	v_mov_b32_e32 v17, 0xffff0000                              // 000000002E98: 7E2202FF FFFF0000
	v_mov_b32_e32 v18, 0x7fff0000                              // 000000002EA0: 7E2402FF 7FFF0000
	v_mov_b32_e32 v19, 0x7fff                                  // 000000002EA8: 7E2602FF 00007FFF
	s_waitcnt vmcnt(0) expcnt(0) lgkmcnt(0)                    // 000000002EB0: BF8C0000
	s_mul_i32 s60, s3, 32                                      // 000000002EB4: 923CA003
	s_mul_i32 s60, 4, s60                                      // 000000002EB8: 923C3C84
	s_add_u32 s40, s60, s40                                    // 000000002EBC: 8028283C
	s_addc_u32 s41, 0, s41                                     // 000000002EC0: 82292980
	v_and_b32_e32 v4, 15, v0                                   // 000000002EC4: 2608008F
	v_lshlrev_b32_e32 v4, 2, v4                                // 000000002EC8: 24080882
	buffer_load_dword v60, v4, s[40:43], 0 offen               // 000000002ECC: E0501000 800A3C04
	buffer_load_dword v61, v4, s[40:43], 0 offen offset:64     // 000000002ED4: E0501040 800A3D04
	v_lshrrev_b32_e32 v4, 5, v0                                // 000000002EDC: 20080085
	v_xor_b32_e32 v5, 1, v4                                    // 000000002EE0: 2A0A0881
	v_readlane_b32 s82, v3, 0                                  // 000000002EE4: D2890052 00010103
	s_and_b32 s82, s82, 0xffffff                               // 000000002EEC: 8652FF52 00FFFFFF
	v_mul_lo_u32 v6, v5, s82                                   // 000000002EF4: D2850006 0000A505
	v_readlane_b32 s82, v3, 1                                  // 000000002EFC: D2890052 00010303
	s_and_b32 s82, s82, 0xffffff                               // 000000002F04: 8652FF52 00FFFFFF
	v_mul_lo_u32 v7, v4, s82                                   // 000000002F0C: D2850007 0000A504
	v_add_u32_e32 v36, v6, v7                                  // 000000002F14: 68480F06
	v_mul_lo_u32 v36, v36, s68                                 // 000000002F18: D2850024 00008924
	v_readlane_b32 s82, v3, 2                                  // 000000002F20: D2890052 00010503
	s_and_b32 s82, s82, 0xffffff                               // 000000002F28: 8652FF52 00FFFFFF
	v_mul_lo_u32 v6, v5, s82                                   // 000000002F30: D2850006 0000A505
	v_readlane_b32 s82, v3, 3                                  // 000000002F38: D2890052 00010703
	s_and_b32 s82, s82, 0xffffff                               // 000000002F40: 8652FF52 00FFFFFF
	v_mul_lo_u32 v7, v4, s82                                   // 000000002F48: D2850007 0000A504
	v_add_u32_e32 v37, v6, v7                                  // 000000002F50: 684A0F06
	v_mul_lo_u32 v37, v37, s68                                 // 000000002F54: D2850025 00008925
	v_readlane_b32 s82, v3, 4                                  // 000000002F5C: D2890052 00010903
	s_and_b32 s82, s82, 0xffffff                               // 000000002F64: 8652FF52 00FFFFFF
	v_mul_lo_u32 v6, v5, s82                                   // 000000002F6C: D2850006 0000A505
	v_readlane_b32 s82, v3, 5                                  // 000000002F74: D2890052 00010B03
	s_and_b32 s82, s82, 0xffffff                               // 000000002F7C: 8652FF52 00FFFFFF
	v_mul_lo_u32 v7, v4, s82                                   // 000000002F84: D2850007 0000A504
	v_add_u32_e32 v38, v6, v7                                  // 000000002F8C: 684C0F06
	v_mul_lo_u32 v38, v38, s68                                 // 000000002F90: D2850026 00008926
	v_readlane_b32 s82, v3, 6                                  // 000000002F98: D2890052 00010D03
	s_and_b32 s82, s82, 0xffffff                               // 000000002FA0: 8652FF52 00FFFFFF
	v_mul_lo_u32 v6, v5, s82                                   // 000000002FA8: D2850006 0000A505
	v_readlane_b32 s82, v3, 7                                  // 000000002FB0: D2890052 00010F03
	s_and_b32 s82, s82, 0xffffff                               // 000000002FB8: 8652FF52 00FFFFFF
	v_mul_lo_u32 v7, v4, s82                                   // 000000002FC0: D2850007 0000A504
	v_add_u32_e32 v39, v6, v7                                  // 000000002FC8: 684E0F06
	v_mul_lo_u32 v39, v39, s68                                 // 000000002FCC: D2850027 00008927
	v_and_b32_e32 v4, 31, v0                                   // 000000002FD4: 2608009F
	v_lshlrev_b32_e32 v4, 2, v4                                // 000000002FD8: 24080882
	v_add_u32_e32 v36, v36, v4                                 // 000000002FDC: 68480924
	v_add_u32_e32 v37, v37, v4                                 // 000000002FE0: 684A0925
	v_add_u32_e32 v38, v38, v4                                 // 000000002FE4: 684C0926
	v_add_u32_e32 v39, v39, v4                                 // 000000002FE8: 684E0927
	v_and_b32_e32 v28, 0xffffff, v28                           // 000000002FEC: 263838FF 00FFFFFF
	v_lshlrev_b32_e32 v28, 2, v28                              // 000000002FF4: 24383882
	v_and_b32_e32 v29, 0xffffff, v29                           // 000000002FF8: 263A3AFF 00FFFFFF
	v_lshlrev_b32_e32 v29, 2, v29                              // 000000003000: 243A3A82
	s_lshl_b32 s3, s66, 2                                      // 000000003004: 8E038242
	buffer_load_dword v30, v28, s[28:31], 0 offen              // 000000003008: E0501000 80071E1C
	buffer_load_dword v31, v29, s[28:31], 0 offen              // 000000003010: E0501000 80071F1D
	buffer_load_dword v24, v22, s[32:35], 0 offen              // 000000003018: E0501000 80081816
	s_mul_i32 s60, 4, s65                                      // 000000003020: 923C4184
	s_add_u32 s32, s60, s32                                    // 000000003024: 8020203C
	s_addc_u32 s33, 0, s33                                     // 000000003028: 82212180
	buffer_load_dword v26, v22, s[32:35], 0 offen              // 00000000302C: E0501000 80081A16
	buffer_load_dword v36, s[20:23], 0 offen lds               // 000000003034: E0511000 80050024
	s_add_u32 m0, 0x100, s48                                   // 00000000303C: 807C30FF 00000100
	buffer_load_dword v37, s[20:23], 0 offen lds               // 000000003044: E0511000 80050025
	s_add_u32 m0, 0x200, s48                                   // 00000000304C: 807C30FF 00000200
	buffer_load_dword v38, s[20:23], 0 offen lds               // 000000003054: E0511000 80050026
	s_add_u32 m0, 0x300, s48                                   // 00000000305C: 807C30FF 00000300
	buffer_load_dword v39, s[20:23], 0 offen lds               // 000000003064: E0511000 80050027
	s_add_u32 m0, 0, s49                                       // 00000000306C: 807C3180
	s_add_u32 s20, s57, s20                                    // 000000003070: 80141439
	s_addc_u32 s21, 0, s21                                     // 000000003074: 82151580
	buffer_load_dword v36, s[20:23], 0 offen lds               // 000000003078: E0511000 80050024
	s_add_u32 m0, 0x100, s49                                   // 000000003080: 807C31FF 00000100
	buffer_load_dword v37, s[20:23], 0 offen lds               // 000000003088: E0511000 80050025
	s_add_u32 m0, 0x200, s49                                   // 000000003090: 807C31FF 00000200
	buffer_load_dword v38, s[20:23], 0 offen lds               // 000000003098: E0511000 80050026
	s_add_u32 m0, 0x300, s49                                   // 0000000030A0: 807C31FF 00000300
	buffer_load_dword v39, s[20:23], 0 offen lds               // 0000000030A8: E0511000 80050027
	s_add_u32 m0, 0, s48                                       // 0000000030B0: 807C3080
	s_add_u32 s20, s57, s20                                    // 0000000030B4: 80141439
	s_addc_u32 s21, 0, s21                                     // 0000000030B8: 82151580
	buffer_load_dwordx4 a[32:35], v40, s[24:27], 0 offen       // 0000000030BC: E05C1000 80862028
	buffer_load_dwordx4 a[36:39], v40, s[24:27], 0 offen offset:1024// 0000000030C4: E05C1400 80862428
	s_add_u32 s24, s58, s24                                    // 0000000030CC: 8018183A
	s_addc_u32 s25, 0, s25                                     // 0000000030D0: 82191980
	s_waitcnt vmcnt(6)                                         // 0000000030D4: BF8C0F76
	s_barrier                                                  // 0000000030D8: BF8A0000
	ds_read_b128 a[0:3], v2                                    // 0000000030DC: DBFE0000 00000002
	ds_read_b128 a[4:7], v2 offset:64                          // 0000000030E4: DBFE0040 04000002
	ds_read_b128 a[8:11], v2 offset:512                        // 0000000030EC: DBFE0200 08000002
	ds_read_b128 a[12:15], v2 offset:576                       // 0000000030F4: DBFE0240 0C000002
	s_cmp_lt_i32 s7, 2                                         // 0000000030FC: BF048207
	s_cbranch_scc0 label_0612                                  // 000000003100: BF84044E

0000000000003104 <label_01C1>:
	s_waitcnt vmcnt(0) lgkmcnt(0)                              // 000000003104: BF8C0070
	s_barrier                                                  // 000000003108: BF8A0000
	v_mfma_f32_16x16x32_fp8_fp8 v[44:47], a[32:33], a[0:1], v[44:47]// 00000000310C: D3F3002C 1CB20120
	v_mfma_f32_16x16x32_fp8_fp8 v[44:47], a[34:35], a[2:3], v[44:47]// 000000003114: D3F3002C 1CB20522
	buffer_load_dwordx4 a[40:43], v40, s[84:87], 0 offen       // 00000000311C: E05C1000 80952828
	v_mfma_f32_16x16x32_fp8_fp8 v[44:47], a[36:37], a[4:5], v[44:47]// 000000003124: D3F3002C 1CB20924
	v_mfma_f32_16x16x32_fp8_fp8 v[44:47], a[38:39], a[6:7], v[44:47]// 00000000312C: D3F3002C 1CB20D26
	v_mfma_f32_16x16x32_fp8_fp8 v[48:51], a[32:33], a[8:9], v[48:51]// 000000003134: D3F30030 1CC21120
	v_mfma_f32_16x16x32_fp8_fp8 v[48:51], a[34:35], a[10:11], v[48:51]// 00000000313C: D3F30030 1CC21522
	buffer_load_dwordx4 a[44:47], v40, s[84:87], 0 offen offset:1024// 000000003144: E05C1400 80952C28
	buffer_load_dword v36, s[20:23], 0 offen lds               // 00000000314C: E0511000 80050024
	s_add_u32 m0, 0x100, s48                                   // 000000003154: 807C30FF 00000100
	s_add_u32 s60, 0x80, s80                                   // 00000000315C: 803C50FF 00000080
	s_cmp_lt_u32 s60, s81                                      // 000000003164: BF0A513C
	s_cselect_b32 s83, s83, 0                                  // 000000003168: 85538053
	v_mfma_f32_16x16x32_fp8_fp8 v[48:51], a[36:37], a[12:13], v[48:51]// 00000000316C: D3F30030 1CC21924
	v_mfma_f32_16x16x32_fp8_fp8 v[48:51], a[38:39], a[14:15], v[48:51]// 000000003174: D3F30030 1CC21D26
	buffer_load_dword v37, s[20:23], 0 offen lds               // 00000000317C: E0511000 80050025
	s_add_u32 m0, 0x200, s48                                   // 000000003184: 807C30FF 00000200
	buffer_load_dword v38, s[20:23], 0 offen lds               // 00000000318C: E0511000 80050026
	s_add_u32 m0, 0x300, s48                                   // 000000003194: 807C30FF 00000300
	buffer_load_dword v39, s[20:23], 0 offen lds               // 00000000319C: E0511000 80050027
	s_add_u32 m0, 0, s49                                       // 0000000031A4: 807C3180
	s_waitcnt vmcnt(4)                                         // 0000000031A8: BF8C0F74
	v_mfma_f32_16x16x32_fp8_fp8 v[52:55], a[40:41], a[0:1], v[52:55]// 0000000031AC: D3F30034 1CD20128
	v_mfma_f32_16x16x32_fp8_fp8 v[52:55], a[42:43], a[2:3], v[52:55]// 0000000031B4: D3F30034 1CD2052A
	buffer_load_dwordx4 a[32:35], v40, s[24:27], 0 offen       // 0000000031BC: E05C1000 80862028
	v_mfma_f32_16x16x32_fp8_fp8 v[52:55], a[44:45], a[4:5], v[52:55]// 0000000031C4: D3F30034 1CD2092C
	s_add_u32 s60, 0x180, s80                                  // 0000000031CC: 803C50FF 00000180
	s_cmp_lt_u32 s60, s81                                      // 0000000031D4: BF0A513C
	s_cselect_b32 s57, s57, 0                                  // 0000000031D8: 85398039
	v_mfma_f32_16x16x32_fp8_fp8 v[52:55], a[46:47], a[6:7], v[52:55]// 0000000031DC: D3F30034 1CD20D2E
	ds_read_b128 a[16:19], v2 offset:4224                      // 0000000031E4: DBFE1080 10000002
	ds_read_b128 a[20:23], v2 offset:4288                      // 0000000031EC: DBFE10C0 14000002
	s_add_u32 s60, 0x100, s80                                  // 0000000031F4: 803C50FF 00000100
	s_cmp_lt_u32 s60, s81                                      // 0000000031FC: BF0A513C
	s_cselect_b32 s58, s58, 0                                  // 000000003200: 853A803A
	v_mfma_f32_16x16x32_fp8_fp8 v[56:59], a[40:41], a[8:9], v[56:59]// 000000003204: D3F30038 1CE21128
	v_mfma_f32_16x16x32_fp8_fp8 v[56:59], a[42:43], a[10:11], v[56:59]// 00000000320C: D3F30038 1CE2152A
	buffer_load_dwordx4 a[36:39], v40, s[24:27], 0 offen offset:1024// 000000003214: E05C1400 80862428
	s_add_u32 s20, s57, s20                                    // 00000000321C: 80141439
	s_addc_u32 s21, 0, s21                                     // 000000003220: 82151580
	v_mfma_f32_16x16x32_fp8_fp8 v[56:59], a[44:45], a[12:13], v[56:59]// 000000003224: D3F30038 1CE2192C
	s_add_u32 s84, s83, s84                                    // 00000000322C: 80545453
	s_addc_u32 s85, 0, s85                                     // 000000003230: 82555580
	v_mfma_f32_16x16x32_fp8_fp8 v[56:59], a[46:47], a[14:15], v[56:59]// 000000003234: D3F30038 1CE21D2E
	ds_read_b128 a[24:27], v2 offset:4736                      // 00000000323C: DBFE1280 18000002
	ds_read_b128 a[28:31], v2 offset:4800                      // 000000003244: DBFE12C0 1C000002
	s_add_u32 s24, s58, s24                                    // 00000000324C: 8018183A
	s_addc_u32 s25, 0, s25                                     // 000000003250: 82191980
	s_addk_i32 s80, 0x80                                       // 000000003254: B7500080
	s_cmp_lt_i32 s80, s81                                      // 000000003258: BF045150
	s_cbranch_scc0 label_0270                                  // 00000000325C: BF840058
	s_waitcnt vmcnt(0) lgkmcnt(0)                              // 000000003260: BF8C0070
	s_barrier                                                  // 000000003264: BF8A0000
	v_mfma_f32_16x16x32_fp8_fp8 v[44:47], a[32:33], a[16:17], v[44:47]// 000000003268: D3F3002C 1CB22120
	v_mfma_f32_16x16x32_fp8_fp8 v[44:47], a[34:35], a[18:19], v[44:47]// 000000003270: D3F3002C 1CB22522
	buffer_load_dwordx4 a[40:43], v40, s[84:87], 0 offen       // 000000003278: E05C1000 80952828
	v_mfma_f32_16x16x32_fp8_fp8 v[44:47], a[36:37], a[20:21], v[44:47]// 000000003280: D3F3002C 1CB22924
	v_mfma_f32_16x16x32_fp8_fp8 v[44:47], a[38:39], a[22:23], v[44:47]// 000000003288: D3F3002C 1CB22D26
	v_mfma_f32_16x16x32_fp8_fp8 v[48:51], a[32:33], a[24:25], v[48:51]// 000000003290: D3F30030 1CC23120
	v_mfma_f32_16x16x32_fp8_fp8 v[48:51], a[34:35], a[26:27], v[48:51]// 000000003298: D3F30030 1CC23522
	buffer_load_dwordx4 a[44:47], v40, s[84:87], 0 offen offset:1024// 0000000032A0: E05C1400 80952C28
	buffer_load_dword v36, s[20:23], 0 offen lds               // 0000000032A8: E0511000 80050024
	s_add_u32 m0, 0x100, s49                                   // 0000000032B0: 807C31FF 00000100
	s_add_u32 s60, 0x80, s80                                   // 0000000032B8: 803C50FF 00000080
	s_cmp_lt_u32 s60, s81                                      // 0000000032C0: BF0A513C
	s_cselect_b32 s83, s83, 0                                  // 0000000032C4: 85538053
	v_mfma_f32_16x16x32_fp8_fp8 v[48:51], a[36:37], a[28:29], v[48:51]// 0000000032C8: D3F30030 1CC23924
	v_mfma_f32_16x16x32_fp8_fp8 v[48:51], a[38:39], a[30:31], v[48:51]// 0000000032D0: D3F30030 1CC23D26
	buffer_load_dword v37, s[20:23], 0 offen lds               // 0000000032D8: E0511000 80050025
	s_add_u32 m0, 0x200, s49                                   // 0000000032E0: 807C31FF 00000200
	buffer_load_dword v38, s[20:23], 0 offen lds               // 0000000032E8: E0511000 80050026
	s_add_u32 m0, 0x300, s49                                   // 0000000032F0: 807C31FF 00000300
	buffer_load_dword v39, s[20:23], 0 offen lds               // 0000000032F8: E0511000 80050027
	s_add_u32 m0, 0, s48                                       // 000000003300: 807C3080
	s_waitcnt vmcnt(4)                                         // 000000003304: BF8C0F74
	v_mfma_f32_16x16x32_fp8_fp8 v[52:55], a[40:41], a[16:17], v[52:55]// 000000003308: D3F30034 1CD22128
	v_mfma_f32_16x16x32_fp8_fp8 v[52:55], a[42:43], a[18:19], v[52:55]// 000000003310: D3F30034 1CD2252A
	buffer_load_dwordx4 a[32:35], v40, s[24:27], 0 offen       // 000000003318: E05C1000 80862028
	v_mfma_f32_16x16x32_fp8_fp8 v[52:55], a[44:45], a[20:21], v[52:55]// 000000003320: D3F30034 1CD2292C
	s_add_u32 s60, 0x180, s80                                  // 000000003328: 803C50FF 00000180
	s_cmp_lt_u32 s60, s81                                      // 000000003330: BF0A513C
	s_cselect_b32 s57, s57, 0                                  // 000000003334: 85398039
	v_mfma_f32_16x16x32_fp8_fp8 v[52:55], a[46:47], a[22:23], v[52:55]// 000000003338: D3F30034 1CD22D2E
	ds_read_b128 a[0:3], v2                                    // 000000003340: DBFE0000 00000002
	ds_read_b128 a[4:7], v2 offset:64                          // 000000003348: DBFE0040 04000002
	s_add_u32 s60, 0x100, s80                                  // 000000003350: 803C50FF 00000100
	s_cmp_lt_u32 s60, s81                                      // 000000003358: BF0A513C
	s_cselect_b32 s58, s58, 0                                  // 00000000335C: 853A803A
	v_mfma_f32_16x16x32_fp8_fp8 v[56:59], a[40:41], a[24:25], v[56:59]// 000000003360: D3F30038 1CE23128
	v_mfma_f32_16x16x32_fp8_fp8 v[56:59], a[42:43], a[26:27], v[56:59]// 000000003368: D3F30038 1CE2352A
	buffer_load_dwordx4 a[36:39], v40, s[24:27], 0 offen offset:1024// 000000003370: E05C1400 80862428
	s_add_u32 s20, s57, s20                                    // 000000003378: 80141439
	s_addc_u32 s21, 0, s21                                     // 00000000337C: 82151580
	v_mfma_f32_16x16x32_fp8_fp8 v[56:59], a[44:45], a[28:29], v[56:59]// 000000003380: D3F30038 1CE2392C
	s_add_u32 s84, s83, s84                                    // 000000003388: 80545453
	s_addc_u32 s85, 0, s85                                     // 00000000338C: 82555580
	v_mfma_f32_16x16x32_fp8_fp8 v[56:59], a[46:47], a[30:31], v[56:59]// 000000003390: D3F30038 1CE23D2E
	ds_read_b128 a[8:11], v2 offset:512                        // 000000003398: DBFE0200 08000002
	ds_read_b128 a[12:15], v2 offset:576                       // 0000000033A0: DBFE0240 0C000002
	s_add_u32 s24, s58, s24                                    // 0000000033A8: 8018183A
	s_addc_u32 s25, 0, s25                                     // 0000000033AC: 82191980
	s_addk_i32 s80, 0x80                                       // 0000000033B0: B7500080
	s_cmp_lt_i32 s80, s81                                      // 0000000033B4: BF045150
	s_cbranch_scc0 label_0270                                  // 0000000033B8: BF840001
	s_branch label_01C1                                        // 0000000033BC: BF82FF51

00000000000033c0 <label_0270>:
	v_mul_f32_dpp v44, v24, v44 row_newbcast:0 row_mask:0xf bank_mask:0xf// 0000000033C0: 0A5858FA FF015018
	v_mul_f32_dpp v45, v24, v45 row_newbcast:1 row_mask:0xf bank_mask:0xf// 0000000033C8: 0A5A5AFA FF015118
	v_mul_f32_dpp v46, v24, v46 row_newbcast:2 row_mask:0xf bank_mask:0xf// 0000000033D0: 0A5C5CFA FF015218
	v_mul_f32_dpp v47, v24, v47 row_newbcast:3 row_mask:0xf bank_mask:0xf// 0000000033D8: 0A5E5EFA FF015318
	v_mul_f32_dpp v48, v24, v48 row_newbcast:0 row_mask:0xf bank_mask:0xf// 0000000033E0: 0A6060FA FF015018
	v_mul_f32_dpp v49, v24, v49 row_newbcast:1 row_mask:0xf bank_mask:0xf// 0000000033E8: 0A6262FA FF015118
	v_mul_f32_dpp v50, v24, v50 row_newbcast:2 row_mask:0xf bank_mask:0xf// 0000000033F0: 0A6464FA FF015218
	v_mul_f32_dpp v51, v24, v51 row_newbcast:3 row_mask:0xf bank_mask:0xf// 0000000033F8: 0A6666FA FF015318
	v_mul_f32_dpp v52, v26, v52 row_newbcast:0 row_mask:0xf bank_mask:0xf// 000000003400: 0A6868FA FF01501A
	v_mul_f32_dpp v53, v26, v53 row_newbcast:1 row_mask:0xf bank_mask:0xf// 000000003408: 0A6A6AFA FF01511A
	v_mul_f32_dpp v54, v26, v54 row_newbcast:2 row_mask:0xf bank_mask:0xf// 000000003410: 0A6C6CFA FF01521A
	v_mul_f32_dpp v55, v26, v55 row_newbcast:3 row_mask:0xf bank_mask:0xf// 000000003418: 0A6E6EFA FF01531A
	v_mul_f32_dpp v56, v26, v56 row_newbcast:0 row_mask:0xf bank_mask:0xf// 000000003420: 0A7070FA FF01501A
	v_mul_f32_dpp v57, v26, v57 row_newbcast:1 row_mask:0xf bank_mask:0xf// 000000003428: 0A7272FA FF01511A
	v_mul_f32_dpp v58, v26, v58 row_newbcast:2 row_mask:0xf bank_mask:0xf// 000000003430: 0A7474FA FF01521A
	v_mul_f32_dpp v59, v26, v59 row_newbcast:3 row_mask:0xf bank_mask:0xf// 000000003438: 0A7676FA FF01531A
	v_mul_f32_e32 v30, v30, v60                                // 000000003440: 0A3C791E
	v_mov_b32_e32 v4, v30                                      // 000000003444: 7E08031E
	v_mov_b32_e32 v5, v4                                       // 000000003448: 7E0A0304
	v_pk_mul_f32 v[44:45], v[4:5], v[44:45]                    // 00000000344C: D3B1402C 18025904
	v_pk_mul_f32 v[52:53], v[4:5], v[52:53]                    // 000000003454: D3B14034 18026904
	v_pk_mul_f32 v[46:47], v[4:5], v[46:47]                    // 00000000345C: D3B1402E 18025D04
	v_pk_mul_f32 v[54:55], v[4:5], v[54:55]                    // 000000003464: D3B14036 18026D04
	v_mul_f32_e32 v31, v31, v61                                // 00000000346C: 0A3E7B1F
	v_mov_b32_e32 v4, v31                                      // 000000003470: 7E08031F
	v_mov_b32_e32 v5, v4                                       // 000000003474: 7E0A0304
	v_pk_mul_f32 v[48:49], v[4:5], v[48:49]                    // 000000003478: D3B14030 18026104
	v_pk_mul_f32 v[56:57], v[4:5], v[56:57]                    // 000000003480: D3B14038 18027104
	v_pk_mul_f32 v[50:51], v[4:5], v[50:51]                    // 000000003488: D3B14032 18026504
	v_pk_mul_f32 v[58:59], v[4:5], v[58:59]                    // 000000003490: D3B1403A 18027504
	s_cmp_eq_u32 s88, 0                                        // 000000003498: BF068058
	s_cbranch_scc0 label_043D                                  // 00000000349C: BF840195
	s_cmp_eq_u32 s89, 0                                        // 0000000034A0: BF068059
	s_cbranch_scc1 label_02FF                                  // 0000000034A4: BF850055
	v_mov_b32_e32 v8, v1                                       // 0000000034A8: 7E100301
	v_mov_b32_e32 v9, v1                                       // 0000000034AC: 7E120301
	s_mov_b32 s60, s6                                          // 0000000034B0: BEBC0006
	s_mov_b32 s61, s6                                          // 0000000034B4: BEBD0006
	v_pk_mul_f32 v[4:5], v[44:45], v[44:45]                    // 0000000034B8: D3B14004 1802592C
	v_pk_mul_f32 v[6:7], v[46:47], v[46:47]                    // 0000000034C0: D3B14006 18025D2E
	v_pk_fma_f32 v[4:5], v[4:5], s[78:79], v[8:9]              // 0000000034C8: D3B04004 1C209D04
	v_pk_fma_f32 v[6:7], v[6:7], s[78:79], v[8:9]              // 0000000034D0: D3B04006 1C209D06
	v_pk_mul_f32 v[4:5], v[4:5], v[44:45]                      // 0000000034D8: D3B14004 18025904
	v_pk_mul_f32 v[6:7], v[6:7], v[46:47]                      // 0000000034E0: D3B14006 18025D06
	v_pk_mul_f32 v[4:5], v[4:5], s[60:61]                      // 0000000034E8: D3B14004 18007904
	v_pk_mul_f32 v[6:7], v[6:7], s[60:61]                      // 0000000034F0: D3B14006 18007906
	v_exp_f32_e32 v4, v4                                       // 0000000034F8: 7E084104
	v_exp_f32_e32 v5, v5                                       // 0000000034FC: 7E0A4105
	v_exp_f32_e32 v6, v6                                       // 000000003500: 7E0C4106
	v_exp_f32_e32 v7, v7                                       // 000000003504: 7E0E4107
	v_add_f32_e64 v4, v4, 1.0                                  // 000000003508: D1010004 0001E504
	v_add_f32_e64 v5, v5, 1.0                                  // 000000003510: D1010005 0001E505
	v_add_f32_e64 v6, v6, 1.0                                  // 000000003518: D1010006 0001E506
	v_add_f32_e64 v7, v7, 1.0                                  // 000000003520: D1010007 0001E507
	v_rcp_f32_e32 v4, v4                                       // 000000003528: 7E084504
	v_rcp_f32_e32 v5, v5                                       // 00000000352C: 7E0A4505
	v_rcp_f32_e32 v6, v6                                       // 000000003530: 7E0C4506
	v_rcp_f32_e32 v7, v7                                       // 000000003534: 7E0E4507
	v_mul_f32_e32 v44, v44, v4                                 // 000000003538: 0A58092C
	v_mul_f32_e32 v45, v45, v5                                 // 00000000353C: 0A5A0B2D
	v_mul_f32_e32 v46, v46, v6                                 // 000000003540: 0A5C0D2E
	v_mul_f32_e32 v47, v47, v7                                 // 000000003544: 0A5E0F2F
	v_mul_f32_e32 v44, v44, v52                                // 000000003548: 0A58692C
	v_mul_f32_e32 v45, v45, v53                                // 00000000354C: 0A5A6B2D
	v_mul_f32_e32 v46, v46, v54                                // 000000003550: 0A5C6D2E
	v_mul_f32_e32 v47, v47, v55                                // 000000003554: 0A5E6F2F
	v_pk_mul_f32 v[4:5], v[48:49], v[48:49]                    // 000000003558: D3B14004 18026130
	v_pk_mul_f32 v[6:7], v[50:51], v[50:51]                    // 000000003560: D3B14006 18026532
	v_pk_fma_f32 v[4:5], v[4:5], s[78:79], v[8:9]              // 000000003568: D3B04004 1C209D04
	v_pk_fma_f32 v[6:7], v[6:7], s[78:79], v[8:9]              // 000000003570: D3B04006 1C209D06
	v_pk_mul_f32 v[4:5], v[4:5], v[48:49]                      // 000000003578: D3B14004 18026104
	v_pk_mul_f32 v[6:7], v[6:7], v[50:51]                      // 000000003580: D3B14006 18026506
	v_pk_mul_f32 v[4:5], v[4:5], s[60:61]                      // 000000003588: D3B14004 18007904
	v_pk_mul_f32 v[6:7], v[6:7], s[60:61]                      // 000000003590: D3B14006 18007906
	v_exp_f32_e32 v4, v4                                       // 000000003598: 7E084104
	v_exp_f32_e32 v5, v5                                       // 00000000359C: 7E0A4105
	v_exp_f32_e32 v6, v6                                       // 0000000035A0: 7E0C4106
	v_exp_f32_e32 v7, v7                                       // 0000000035A4: 7E0E4107
	v_add_f32_e64 v4, v4, 1.0                                  // 0000000035A8: D1010004 0001E504
	v_add_f32_e64 v5, v5, 1.0                                  // 0000000035B0: D1010005 0001E505
	v_add_f32_e64 v6, v6, 1.0                                  // 0000000035B8: D1010006 0001E506
	v_add_f32_e64 v7, v7, 1.0                                  // 0000000035C0: D1010007 0001E507
	v_rcp_f32_e32 v4, v4                                       // 0000000035C8: 7E084504
	v_rcp_f32_e32 v5, v5                                       // 0000000035CC: 7E0A4505
	v_rcp_f32_e32 v6, v6                                       // 0000000035D0: 7E0C4506
	v_rcp_f32_e32 v7, v7                                       // 0000000035D4: 7E0E4507
	v_mul_f32_e32 v48, v48, v4                                 // 0000000035D8: 0A600930
	v_mul_f32_e32 v49, v49, v5                                 // 0000000035DC: 0A620B31
	v_mul_f32_e32 v50, v50, v6                                 // 0000000035E0: 0A640D32
	v_mul_f32_e32 v51, v51, v7                                 // 0000000035E4: 0A660F33
	v_mul_f32_e32 v48, v48, v56                                // 0000000035E8: 0A607130
	v_mul_f32_e32 v49, v49, v57                                // 0000000035EC: 0A627331
	v_mul_f32_e32 v50, v50, v58                                // 0000000035F0: 0A647532
	v_mul_f32_e32 v51, v51, v59                                // 0000000035F4: 0A667733
	s_branch label_033F                                        // 0000000035F8: BF820040

00000000000035fc <label_02FF>:
	v_mul_f32_e64 v4, -v44, s6                                 // 0000000035FC: D1050004 20000D2C
	v_mul_f32_e64 v5, -v45, s6                                 // 000000003604: D1050005 20000D2D
	v_mul_f32_e64 v6, -v46, s6                                 // 00000000360C: D1050006 20000D2E
	v_mul_f32_e64 v7, -v47, s6                                 // 000000003614: D1050007 20000D2F
	v_exp_f32_e32 v4, v4                                       // 00000000361C: 7E084104
	v_exp_f32_e32 v5, v5                                       // 000000003620: 7E0A4105
	v_exp_f32_e32 v6, v6                                       // 000000003624: 7E0C4106
	v_exp_f32_e32 v7, v7                                       // 000000003628: 7E0E4107
	v_add_f32_e64 v4, v4, 1.0                                  // 00000000362C: D1010004 0001E504
	v_add_f32_e64 v5, v5, 1.0                                  // 000000003634: D1010005 0001E505
	v_add_f32_e64 v6, v6, 1.0                                  // 00000000363C: D1010006 0001E506
	v_add_f32_e64 v7, v7, 1.0                                  // 000000003644: D1010007 0001E507
	v_rcp_f32_e32 v4, v4                                       // 00000000364C: 7E084504
	v_rcp_f32_e32 v5, v5                                       // 000000003650: 7E0A4505
	v_rcp_f32_e32 v6, v6                                       // 000000003654: 7E0C4506
	v_rcp_f32_e32 v7, v7                                       // 000000003658: 7E0E4507
	v_mul_f32_e32 v44, v44, v4                                 // 00000000365C: 0A58092C
	v_mul_f32_e32 v45, v45, v5                                 // 000000003660: 0A5A0B2D
	v_mul_f32_e32 v46, v46, v6                                 // 000000003664: 0A5C0D2E
	v_mul_f32_e32 v47, v47, v7                                 // 000000003668: 0A5E0F2F
	v_mul_f32_e32 v44, v44, v52                                // 00000000366C: 0A58692C
	v_mul_f32_e32 v45, v45, v53                                // 000000003670: 0A5A6B2D
	v_mul_f32_e32 v46, v46, v54                                // 000000003674: 0A5C6D2E
	v_mul_f32_e32 v47, v47, v55                                // 000000003678: 0A5E6F2F
	v_mul_f32_e64 v4, -v48, s6                                 // 00000000367C: D1050004 20000D30
	v_mul_f32_e64 v5, -v49, s6                                 // 000000003684: D1050005 20000D31
	v_mul_f32_e64 v6, -v50, s6                                 // 00000000368C: D1050006 20000D32
	v_mul_f32_e64 v7, -v51, s6                                 // 000000003694: D1050007 20000D33
	v_exp_f32_e32 v4, v4                                       // 00000000369C: 7E084104
	v_exp_f32_e32 v5, v5                                       // 0000000036A0: 7E0A4105
	v_exp_f32_e32 v6, v6                                       // 0000000036A4: 7E0C4106
	v_exp_f32_e32 v7, v7                                       // 0000000036A8: 7E0E4107
	v_add_f32_e64 v4, v4, 1.0                                  // 0000000036AC: D1010004 0001E504
	v_add_f32_e64 v5, v5, 1.0                                  // 0000000036B4: D1010005 0001E505
	v_add_f32_e64 v6, v6, 1.0                                  // 0000000036BC: D1010006 0001E506
	v_add_f32_e64 v7, v7, 1.0                                  // 0000000036C4: D1010007 0001E507
	v_rcp_f32_e32 v4, v4                                       // 0000000036CC: 7E084504
	v_rcp_f32_e32 v5, v5                                       // 0000000036D0: 7E0A4505
	v_rcp_f32_e32 v6, v6                                       // 0000000036D4: 7E0C4506
	v_rcp_f32_e32 v7, v7                                       // 0000000036D8: 7E0E4507
	v_mul_f32_e32 v48, v48, v4                                 // 0000000036DC: 0A600930
	v_mul_f32_e32 v49, v49, v5                                 // 0000000036E0: 0A620B31
	v_mul_f32_e32 v50, v50, v6                                 // 0000000036E4: 0A640D32
	v_mul_f32_e32 v51, v51, v7                                 // 0000000036E8: 0A660F33
	v_mul_f32_e32 v48, v48, v56                                // 0000000036EC: 0A607130
	v_mul_f32_e32 v49, v49, v57                                // 0000000036F0: 0A627331
	v_mul_f32_e32 v50, v50, v58                                // 0000000036F4: 0A647532
	v_mul_f32_e32 v51, v51, v59                                // 0000000036F8: 0A667733

00000000000036fc <label_033F>:
	v_cmp_u_f32_e64 s[46:47], v44, v44                         // 0000000036FC: D048002E 0002592C
	v_add3_u32 v16, v44, v19, 1                                // 000000003704: D1FF0010 0206272C
	v_cndmask_b32_e64 v4, v16, v18, s[46:47]                   // 00000000370C: D1000004 00BA2510
	v_cmp_u_f32_e64 s[46:47], v45, v45                         // 000000003714: D048002E 00025B2D
	v_add3_u32 v16, v45, v19, 1                                // 00000000371C: D1FF0010 0206272D
	v_cndmask_b32_e64 v5, v16, v18, s[46:47]                   // 000000003724: D1000005 00BA2510
	v_perm_b32 v44, v5, v4, s52                                // 00000000372C: D1ED002C 00D20905
	v_cmp_u_f32_e64 s[46:47], v46, v46                         // 000000003734: D048002E 00025D2E
	v_add3_u32 v16, v46, v19, 1                                // 00000000373C: D1FF0010 0206272E
	v_cndmask_b32_e64 v4, v16, v18, s[46:47]                   // 000000003744: D1000004 00BA2510
	v_cmp_u_f32_e64 s[46:47], v47, v47                         // 00000000374C: D048002E 00025F2F
	v_add3_u32 v16, v47, v19, 1                                // 000000003754: D1FF0010 0206272F
	v_cndmask_b32_e64 v5, v16, v18, s[46:47]                   // 00000000375C: D1000005 00BA2510
	v_perm_b32 v45, v5, v4, s52                                // 000000003764: D1ED002D 00D20905
	v_cmp_u_f32_e64 s[46:47], v48, v48                         // 00000000376C: D048002E 00026130
	v_add3_u32 v16, v48, v19, 1                                // 000000003774: D1FF0010 02062730
	v_cndmask_b32_e64 v4, v16, v18, s[46:47]                   // 00000000377C: D1000004 00BA2510
	v_cmp_u_f32_e64 s[46:47], v49, v49                         // 000000003784: D048002E 00026331
	v_add3_u32 v16, v49, v19, 1                                // 00000000378C: D1FF0010 02062731
	v_cndmask_b32_e64 v5, v16, v18, s[46:47]                   // 000000003794: D1000005 00BA2510
	v_perm_b32 v46, v5, v4, s52                                // 00000000379C: D1ED002E 00D20905
	v_cmp_u_f32_e64 s[46:47], v50, v50                         // 0000000037A4: D048002E 00026532
	v_add3_u32 v16, v50, v19, 1                                // 0000000037AC: D1FF0010 02062732
	v_cndmask_b32_e64 v4, v16, v18, s[46:47]                   // 0000000037B4: D1000004 00BA2510
	v_cmp_u_f32_e64 s[46:47], v51, v51                         // 0000000037BC: D048002E 00026733
	v_add3_u32 v16, v51, v19, 1                                // 0000000037C4: D1FF0010 02062733
	v_cndmask_b32_e64 v5, v16, v18, s[46:47]                   // 0000000037CC: D1000005 00BA2510
	v_perm_b32 v47, v5, v4, s52                                // 0000000037D4: D1ED002F 00D20905
	ds_write_b64 v20, v[44:45]                                 // 0000000037DC: D89A0000 00002C14
	ds_write_b64 v20, v[46:47] offset:2176                     // 0000000037E4: D89A0880 00002E14
	v_lshrrev_b32_e32 v4, 5, v0                                // 0000000037EC: 20080085
	v_xor_b32_e32 v5, 1, v4                                    // 0000000037F0: 2A0A0881
	s_mul_i32 s60, s65, 2                                      // 0000000037F4: 923C8241
	s_cmp_eq_u32 s88, 0                                        // 0000000037F8: BF068058
	s_cselect_b32 s61, 1, 4                                    // 0000000037FC: 853D8481
	s_mul_i32 s60, s61, s60                                    // 000000003800: 923C3C3D
	v_readlane_b32 s82, v3, 0                                  // 000000003804: D2890052 00010103
	s_lshr_b32 s61, s82, 24                                    // 00000000380C: 8F3D9852
	s_and_b32 s82, s82, 0xffffff                               // 000000003810: 8652FF52 00FFFFFF
	s_mul_i32 s82, s82, s71                                    // 000000003818: 92524752
	s_mul_i32 s61, s60, s61                                    // 00000000381C: 923D3D3C
	s_add_u32 s82, s82, s61                                    // 000000003820: 80523D52
	v_mul_lo_u32 v6, v5, s82                                   // 000000003824: D2850006 0000A505
	v_readlane_b32 s82, v3, 1                                  // 00000000382C: D2890052 00010303
	s_lshr_b32 s61, s82, 24                                    // 000000003834: 8F3D9852
	s_and_b32 s82, s82, 0xffffff                               // 000000003838: 8652FF52 00FFFFFF
	s_mul_i32 s82, s82, s71                                    // 000000003840: 92524752
	s_mul_i32 s61, s60, s61                                    // 000000003844: 923D3D3C
	s_add_u32 s82, s82, s61                                    // 000000003848: 80523D52
	v_mul_lo_u32 v7, v4, s82                                   // 00000000384C: D2850007 0000A504
	v_add_u32_e32 v36, v6, v7                                  // 000000003854: 68480F06
	v_readlane_b32 s82, v3, 2                                  // 000000003858: D2890052 00010503
	s_lshr_b32 s61, s82, 24                                    // 000000003860: 8F3D9852
	s_and_b32 s82, s82, 0xffffff                               // 000000003864: 8652FF52 00FFFFFF
	s_mul_i32 s82, s82, s71                                    // 00000000386C: 92524752
	s_mul_i32 s61, s60, s61                                    // 000000003870: 923D3D3C
	s_add_u32 s82, s82, s61                                    // 000000003874: 80523D52
	v_mul_lo_u32 v6, v5, s82                                   // 000000003878: D2850006 0000A505
	v_readlane_b32 s82, v3, 3                                  // 000000003880: D2890052 00010703
	s_lshr_b32 s61, s82, 24                                    // 000000003888: 8F3D9852
	s_and_b32 s82, s82, 0xffffff                               // 00000000388C: 8652FF52 00FFFFFF
	s_mul_i32 s82, s82, s71                                    // 000000003894: 92524752
	s_mul_i32 s61, s60, s61                                    // 000000003898: 923D3D3C
	s_add_u32 s82, s82, s61                                    // 00000000389C: 80523D52
	v_mul_lo_u32 v7, v4, s82                                   // 0000000038A0: D2850007 0000A504
	v_add_u32_e32 v37, v6, v7                                  // 0000000038A8: 684A0F06
	v_readlane_b32 s82, v3, 4                                  // 0000000038AC: D2890052 00010903
	s_lshr_b32 s61, s82, 24                                    // 0000000038B4: 8F3D9852
	s_and_b32 s82, s82, 0xffffff                               // 0000000038B8: 8652FF52 00FFFFFF
	s_mul_i32 s82, s82, s71                                    // 0000000038C0: 92524752
	s_mul_i32 s61, s60, s61                                    // 0000000038C4: 923D3D3C
	s_add_u32 s82, s82, s61                                    // 0000000038C8: 80523D52
	v_mul_lo_u32 v6, v5, s82                                   // 0000000038CC: D2850006 0000A505
	v_readlane_b32 s82, v3, 5                                  // 0000000038D4: D2890052 00010B03
	s_lshr_b32 s61, s82, 24                                    // 0000000038DC: 8F3D9852
	s_and_b32 s82, s82, 0xffffff                               // 0000000038E0: 8652FF52 00FFFFFF
	s_mul_i32 s82, s82, s71                                    // 0000000038E8: 92524752
	s_mul_i32 s61, s60, s61                                    // 0000000038EC: 923D3D3C
	s_add_u32 s82, s82, s61                                    // 0000000038F0: 80523D52
	v_mul_lo_u32 v7, v4, s82                                   // 0000000038F4: D2850007 0000A504
	v_add_u32_e32 v38, v6, v7                                  // 0000000038FC: 684C0F06
	v_readlane_b32 s82, v3, 6                                  // 000000003900: D2890052 00010D03
	s_lshr_b32 s61, s82, 24                                    // 000000003908: 8F3D9852
	s_and_b32 s82, s82, 0xffffff                               // 00000000390C: 8652FF52 00FFFFFF
	s_mul_i32 s82, s82, s71                                    // 000000003914: 92524752
	s_mul_i32 s61, s60, s61                                    // 000000003918: 923D3D3C
	s_add_u32 s82, s82, s61                                    // 00000000391C: 80523D52
	v_mul_lo_u32 v6, v5, s82                                   // 000000003920: D2850006 0000A505
	v_readlane_b32 s82, v3, 7                                  // 000000003928: D2890052 00010F03
	s_lshr_b32 s61, s82, 24                                    // 000000003930: 8F3D9852
	s_and_b32 s82, s82, 0xffffff                               // 000000003934: 8652FF52 00FFFFFF
	s_mul_i32 s82, s82, s71                                    // 00000000393C: 92524752
	s_mul_i32 s61, s60, s61                                    // 000000003940: 923D3D3C
	s_add_u32 s82, s82, s61                                    // 000000003944: 80523D52
	v_mul_lo_u32 v7, v4, s82                                   // 000000003948: D2850007 0000A504
	v_add_u32_e32 v39, v6, v7                                  // 000000003950: 684E0F06
	v_and_b32_e32 v4, 31, v0                                   // 000000003954: 2608009F
	v_lshrrev_b32_e32 v4, 1, v4                                // 000000003958: 20080881
	s_cmp_eq_u32 s88, 0                                        // 00000000395C: BF068058
	s_cselect_b32 s61, 2, 4                                    // 000000003960: 853D8482
	v_mul_lo_u32 v4, v4, s61                                   // 000000003964: D2850004 00007B04
	v_and_b32_e64 v5, v0, 1                                    // 00000000396C: D1130005 00010300
	v_add_u32_e32 v4, v4, v5                                   // 000000003974: 68080B04
	v_lshlrev_b32_e32 v4, 2, v4                                // 000000003978: 24080882
	v_add_u32_e32 v36, v36, v4                                 // 00000000397C: 68480924
	v_add_u32_e32 v37, v37, v4                                 // 000000003980: 684A0925
	v_add_u32_e32 v38, v38, v4                                 // 000000003984: 684C0926
	v_add_u32_e32 v39, v39, v4                                 // 000000003988: 684E0927
	s_waitcnt lgkmcnt(0)                                       // 00000000398C: BF8CC07F
	s_barrier                                                  // 000000003990: BF8A0000
	ds_read_b32 v44, v21                                       // 000000003994: D86C0000 2C000015
	ds_read_b32 v45, v21 offset:64                             // 00000000399C: D86C0040 2D000015
	ds_read_b32 v46, v21 offset:2176                           // 0000000039A4: D86C0880 2E000015
	ds_read_b32 v47, v21 offset:2240                           // 0000000039AC: D86C08C0 2F000015
	s_waitcnt lgkmcnt(0)                                       // 0000000039B4: BF8CC07F
	s_mov_b32 s36, -1                                          // 0000000039B8: BEA400C1
	s_mov_b32 s37, -1                                          // 0000000039BC: BEA500C1
	v_mov_b32_e32 v7, 0                                        // 0000000039C0: 7E0E0280
	s_or_b32 s9, s9, 0x40000                                   // 0000000039C4: 8709FF09 00040000
	s_mov_b64 exec, s[36:37]                                   // 0000000039CC: BEFE0124
	v_mov_b32_e32 v6, v36                                      // 0000000039D0: 7E0C0324
	s_mov_b64 s[60:61], 0                                      // 0000000039D4: BEBC0180
	v_readlane_b32 s82, v3, 0                                  // 0000000039D8: D2890052 00010103
	s_and_b32 s82, s82, 0xffffff                               // 0000000039E0: 8652FF52 00FFFFFF
	s_cmp_lt_u32 s82, s66                                      // 0000000039E8: BF0A4252
	s_cselect_b32 s20, s36, s60                                // 0000000039EC: 85143C24
	v_readlane_b32 s82, v3, 1                                  // 0000000039F0: D2890052 00010303
	s_and_b32 s82, s82, 0xffffff                               // 0000000039F8: 8652FF52 00FFFFFF
	s_cmp_lt_u32 s82, s66                                      // 000000003A00: BF0A4252
	s_cselect_b32 s21, s36, s60                                // 000000003A04: 85153C24
	s_mov_b64 exec, s[20:21]                                   // 000000003A08: BEFE0114
	buffer_store_dword v44, v6, s[8:11], 0 offen               // 000000003A0C: E0701000 80022C06
	s_mov_b64 exec, s[36:37]                                   // 000000003A14: BEFE0124
	v_mov_b32_e32 v6, v37                                      // 000000003A18: 7E0C0325
	s_mov_b64 s[60:61], 0                                      // 000000003A1C: BEBC0180
	v_readlane_b32 s82, v3, 2                                  // 000000003A20: D2890052 00010503
	s_and_b32 s82, s82, 0xffffff                               // 000000003A28: 8652FF52 00FFFFFF
	s_cmp_lt_u32 s82, s66                                      // 000000003A30: BF0A4252
	s_cselect_b32 s20, s36, s60                                // 000000003A34: 85143C24
	v_readlane_b32 s82, v3, 3                                  // 000000003A38: D2890052 00010703
	s_and_b32 s82, s82, 0xffffff                               // 000000003A40: 8652FF52 00FFFFFF
	s_cmp_lt_u32 s82, s66                                      // 000000003A48: BF0A4252
	s_cselect_b32 s21, s36, s60                                // 000000003A4C: 85153C24
	s_mov_b64 exec, s[20:21]                                   // 000000003A50: BEFE0114
	buffer_store_dword v45, v6, s[8:11], 0 offen               // 000000003A54: E0701000 80022D06
	s_mov_b64 exec, s[36:37]                                   // 000000003A5C: BEFE0124
	v_mov_b32_e32 v6, v38                                      // 000000003A60: 7E0C0326
	s_mov_b64 s[60:61], 0                                      // 000000003A64: BEBC0180
	v_readlane_b32 s82, v3, 4                                  // 000000003A68: D2890052 00010903
	s_and_b32 s82, s82, 0xffffff                               // 000000003A70: 8652FF52 00FFFFFF
	s_cmp_lt_u32 s82, s66                                      // 000000003A78: BF0A4252
	s_cselect_b32 s20, s36, s60                                // 000000003A7C: 85143C24
	v_readlane_b32 s82, v3, 5                                  // 000000003A80: D2890052 00010B03
	s_and_b32 s82, s82, 0xffffff                               // 000000003A88: 8652FF52 00FFFFFF
	s_cmp_lt_u32 s82, s66                                      // 000000003A90: BF0A4252
	s_cselect_b32 s21, s36, s60                                // 000000003A94: 85153C24
	s_mov_b64 exec, s[20:21]                                   // 000000003A98: BEFE0114
	buffer_store_dword v46, v6, s[8:11], 0 offen               // 000000003A9C: E0701000 80022E06
	s_mov_b64 exec, s[36:37]                                   // 000000003AA4: BEFE0124
	v_mov_b32_e32 v6, v39                                      // 000000003AA8: 7E0C0327
	s_mov_b64 s[60:61], 0                                      // 000000003AAC: BEBC0180
	v_readlane_b32 s82, v3, 6                                  // 000000003AB0: D2890052 00010D03
	s_and_b32 s82, s82, 0xffffff                               // 000000003AB8: 8652FF52 00FFFFFF
	s_cmp_lt_u32 s82, s66                                      // 000000003AC0: BF0A4252
	s_cselect_b32 s20, s36, s60                                // 000000003AC4: 85143C24
	v_readlane_b32 s82, v3, 7                                  // 000000003AC8: D2890052 00010F03
	s_and_b32 s82, s82, 0xffffff                               // 000000003AD0: 8652FF52 00FFFFFF
	s_cmp_lt_u32 s82, s66                                      // 000000003AD8: BF0A4252
	s_cselect_b32 s21, s36, s60                                // 000000003ADC: 85153C24
	s_mov_b64 exec, s[20:21]                                   // 000000003AE0: BEFE0114
	buffer_store_dword v47, v6, s[8:11], 0 offen               // 000000003AE4: E0701000 80022F06
	s_mov_b64 exec, s[36:37]                                   // 000000003AEC: BEFE0124
	s_branch label_0A60                                        // 000000003AF0: BF820620

0000000000003af4 <label_043D>:
	ds_write_b64 v20, v[44:45]                                 // 000000003AF4: D89A0000 00002C14
	ds_write_b64 v20, v[48:49] offset:2176                     // 000000003AFC: D89A0880 00003014
	v_lshrrev_b32_e32 v4, 5, v0                                // 000000003B04: 20080085
	v_xor_b32_e32 v5, 1, v4                                    // 000000003B08: 2A0A0881
	s_mul_i32 s60, s65, 2                                      // 000000003B0C: 923C8241
	s_cmp_eq_u32 s88, 0                                        // 000000003B10: BF068058
	s_cselect_b32 s61, 1, 4                                    // 000000003B14: 853D8481
	s_mul_i32 s60, s61, s60                                    // 000000003B18: 923C3C3D
	v_readlane_b32 s82, v3, 0                                  // 000000003B1C: D2890052 00010103
	s_lshr_b32 s61, s82, 24                                    // 000000003B24: 8F3D9852
	s_and_b32 s82, s82, 0xffffff                               // 000000003B28: 8652FF52 00FFFFFF
	s_mul_i32 s82, s82, s71                                    // 000000003B30: 92524752
	s_mul_i32 s61, s60, s61                                    // 000000003B34: 923D3D3C
	s_add_u32 s82, s82, s61                                    // 000000003B38: 80523D52
	v_mul_lo_u32 v6, v5, s82                                   // 000000003B3C: D2850006 0000A505
	v_readlane_b32 s82, v3, 1                                  // 000000003B44: D2890052 00010303
	s_lshr_b32 s61, s82, 24                                    // 000000003B4C: 8F3D9852
	s_and_b32 s82, s82, 0xffffff                               // 000000003B50: 8652FF52 00FFFFFF
	s_mul_i32 s82, s82, s71                                    // 000000003B58: 92524752
	s_mul_i32 s61, s60, s61                                    // 000000003B5C: 923D3D3C
	s_add_u32 s82, s82, s61                                    // 000000003B60: 80523D52
	v_mul_lo_u32 v7, v4, s82                                   // 000000003B64: D2850007 0000A504
	v_add_u32_e32 v36, v6, v7                                  // 000000003B6C: 68480F06
	v_readlane_b32 s82, v3, 2                                  // 000000003B70: D2890052 00010503
	s_lshr_b32 s61, s82, 24                                    // 000000003B78: 8F3D9852
	s_and_b32 s82, s82, 0xffffff                               // 000000003B7C: 8652FF52 00FFFFFF
	s_mul_i32 s82, s82, s71                                    // 000000003B84: 92524752
	s_mul_i32 s61, s60, s61                                    // 000000003B88: 923D3D3C
	s_add_u32 s82, s82, s61                                    // 000000003B8C: 80523D52
	v_mul_lo_u32 v6, v5, s82                                   // 000000003B90: D2850006 0000A505
	v_readlane_b32 s82, v3, 3                                  // 000000003B98: D2890052 00010703
	s_lshr_b32 s61, s82, 24                                    // 000000003BA0: 8F3D9852
	s_and_b32 s82, s82, 0xffffff                               // 000000003BA4: 8652FF52 00FFFFFF
	s_mul_i32 s82, s82, s71                                    // 000000003BAC: 92524752
	s_mul_i32 s61, s60, s61                                    // 000000003BB0: 923D3D3C
	s_add_u32 s82, s82, s61                                    // 000000003BB4: 80523D52
	v_mul_lo_u32 v7, v4, s82                                   // 000000003BB8: D2850007 0000A504
	v_add_u32_e32 v37, v6, v7                                  // 000000003BC0: 684A0F06
	v_readlane_b32 s82, v3, 4                                  // 000000003BC4: D2890052 00010903
	s_lshr_b32 s61, s82, 24                                    // 000000003BCC: 8F3D9852
	s_and_b32 s82, s82, 0xffffff                               // 000000003BD0: 8652FF52 00FFFFFF
	s_mul_i32 s82, s82, s71                                    // 000000003BD8: 92524752
	s_mul_i32 s61, s60, s61                                    // 000000003BDC: 923D3D3C
	s_add_u32 s82, s82, s61                                    // 000000003BE0: 80523D52
	v_mul_lo_u32 v6, v5, s82                                   // 000000003BE4: D2850006 0000A505
	v_readlane_b32 s82, v3, 5                                  // 000000003BEC: D2890052 00010B03
	s_lshr_b32 s61, s82, 24                                    // 000000003BF4: 8F3D9852
	s_and_b32 s82, s82, 0xffffff                               // 000000003BF8: 8652FF52 00FFFFFF
	s_mul_i32 s82, s82, s71                                    // 000000003C00: 92524752
	s_mul_i32 s61, s60, s61                                    // 000000003C04: 923D3D3C
	s_add_u32 s82, s82, s61                                    // 000000003C08: 80523D52
	v_mul_lo_u32 v7, v4, s82                                   // 000000003C0C: D2850007 0000A504
	v_add_u32_e32 v38, v6, v7                                  // 000000003C14: 684C0F06
	v_readlane_b32 s82, v3, 6                                  // 000000003C18: D2890052 00010D03
	s_lshr_b32 s61, s82, 24                                    // 000000003C20: 8F3D9852
	s_and_b32 s82, s82, 0xffffff                               // 000000003C24: 8652FF52 00FFFFFF
	s_mul_i32 s82, s82, s71                                    // 000000003C2C: 92524752
	s_mul_i32 s61, s60, s61                                    // 000000003C30: 923D3D3C
	s_add_u32 s82, s82, s61                                    // 000000003C34: 80523D52
	v_mul_lo_u32 v6, v5, s82                                   // 000000003C38: D2850006 0000A505
	v_readlane_b32 s82, v3, 7                                  // 000000003C40: D2890052 00010F03
	s_lshr_b32 s61, s82, 24                                    // 000000003C48: 8F3D9852
	s_and_b32 s82, s82, 0xffffff                               // 000000003C4C: 8652FF52 00FFFFFF
	s_mul_i32 s82, s82, s71                                    // 000000003C54: 92524752
	s_mul_i32 s61, s60, s61                                    // 000000003C58: 923D3D3C
	s_add_u32 s82, s82, s61                                    // 000000003C5C: 80523D52
	v_mul_lo_u32 v7, v4, s82                                   // 000000003C60: D2850007 0000A504
	v_add_u32_e32 v39, v6, v7                                  // 000000003C68: 684E0F06
	v_and_b32_e32 v4, 31, v0                                   // 000000003C6C: 2608009F
	v_lshrrev_b32_e32 v4, 1, v4                                // 000000003C70: 20080881
	s_cmp_eq_u32 s88, 0                                        // 000000003C74: BF068058
	s_cselect_b32 s61, 2, 4                                    // 000000003C78: 853D8482
	v_mul_lo_u32 v4, v4, s61                                   // 000000003C7C: D2850004 00007B04
	v_and_b32_e64 v5, v0, 1                                    // 000000003C84: D1130005 00010300
	v_add_u32_e32 v4, v4, v5                                   // 000000003C8C: 68080B04
	v_lshlrev_b32_e32 v4, 2, v4                                // 000000003C90: 24080882
	v_add_u32_e32 v36, v36, v4                                 // 000000003C94: 68480924
	v_add_u32_e32 v37, v37, v4                                 // 000000003C98: 684A0925
	v_add_u32_e32 v38, v38, v4                                 // 000000003C9C: 684C0926
	v_add_u32_e32 v39, v39, v4                                 // 000000003CA0: 684E0927
	s_waitcnt lgkmcnt(0)                                       // 000000003CA4: BF8CC07F
	s_barrier                                                  // 000000003CA8: BF8A0000
	ds_read_b32 v44, v21                                       // 000000003CAC: D86C0000 2C000015
	ds_read_b32 v45, v21 offset:64                             // 000000003CB4: D86C0040 2D000015
	ds_read_b32 v48, v21 offset:2176                           // 000000003CBC: D86C0880 30000015
	ds_read_b32 v49, v21 offset:2240                           // 000000003CC4: D86C08C0 31000015
	s_waitcnt lgkmcnt(0)                                       // 000000003CCC: BF8CC07F
	s_mov_b32 s36, -1                                          // 000000003CD0: BEA400C1
	s_mov_b32 s37, -1                                          // 000000003CD4: BEA500C1
	v_mov_b32_e32 v7, 0                                        // 000000003CD8: 7E0E0280
	s_mov_b64 exec, s[36:37]                                   // 000000003CDC: BEFE0124
	v_mov_b32_e32 v6, v36                                      // 000000003CE0: 7E0C0324
	s_mov_b64 s[60:61], 0                                      // 000000003CE4: BEBC0180
	v_readlane_b32 s82, v3, 0                                  // 000000003CE8: D2890052 00010103
	s_and_b32 s82, s82, 0xffffff                               // 000000003CF0: 8652FF52 00FFFFFF
	s_cmp_lt_u32 s82, s66                                      // 000000003CF8: BF0A4252
	s_cselect_b32 s20, s36, s60                                // 000000003CFC: 85143C24
	v_readlane_b32 s82, v3, 1                                  // 000000003D00: D2890052 00010303
	s_and_b32 s82, s82, 0xffffff                               // 000000003D08: 8652FF52 00FFFFFF
	s_cmp_lt_u32 s82, s66                                      // 000000003D10: BF0A4252
	s_cselect_b32 s21, s36, s60                                // 000000003D14: 85153C24
	s_mov_b64 exec, s[20:21]                                   // 000000003D18: BEFE0114
	global_atomic_add_f32 v6, v44, s[8:9]                      // 000000003D1C: DD348000 00082C06
	s_mov_b64 exec, s[36:37]                                   // 000000003D24: BEFE0124
	v_mov_b32_e32 v6, v37                                      // 000000003D28: 7E0C0325
	s_mov_b64 s[60:61], 0                                      // 000000003D2C: BEBC0180
	v_readlane_b32 s82, v3, 2                                  // 000000003D30: D2890052 00010503
	s_and_b32 s82, s82, 0xffffff                               // 000000003D38: 8652FF52 00FFFFFF
	s_cmp_lt_u32 s82, s66                                      // 000000003D40: BF0A4252
	s_cselect_b32 s20, s36, s60                                // 000000003D44: 85143C24
	v_readlane_b32 s82, v3, 3                                  // 000000003D48: D2890052 00010703
	s_and_b32 s82, s82, 0xffffff                               // 000000003D50: 8652FF52 00FFFFFF
	s_cmp_lt_u32 s82, s66                                      // 000000003D58: BF0A4252
	s_cselect_b32 s21, s36, s60                                // 000000003D5C: 85153C24
	s_mov_b64 exec, s[20:21]                                   // 000000003D60: BEFE0114
	global_atomic_add_f32 v6, v45, s[8:9]                      // 000000003D64: DD348000 00082D06
	s_mov_b64 exec, s[36:37]                                   // 000000003D6C: BEFE0124
	v_mov_b32_e32 v6, v38                                      // 000000003D70: 7E0C0326
	s_mov_b64 s[60:61], 0                                      // 000000003D74: BEBC0180
	v_readlane_b32 s82, v3, 4                                  // 000000003D78: D2890052 00010903
	s_and_b32 s82, s82, 0xffffff                               // 000000003D80: 8652FF52 00FFFFFF
	s_cmp_lt_u32 s82, s66                                      // 000000003D88: BF0A4252
	s_cselect_b32 s20, s36, s60                                // 000000003D8C: 85143C24
	v_readlane_b32 s82, v3, 5                                  // 000000003D90: D2890052 00010B03
	s_and_b32 s82, s82, 0xffffff                               // 000000003D98: 8652FF52 00FFFFFF
	s_cmp_lt_u32 s82, s66                                      // 000000003DA0: BF0A4252
	s_cselect_b32 s21, s36, s60                                // 000000003DA4: 85153C24
	s_mov_b64 exec, s[20:21]                                   // 000000003DA8: BEFE0114
	global_atomic_add_f32 v6, v48, s[8:9]                      // 000000003DAC: DD348000 00083006
	s_mov_b64 exec, s[36:37]                                   // 000000003DB4: BEFE0124
	v_mov_b32_e32 v6, v39                                      // 000000003DB8: 7E0C0327
	s_mov_b64 s[60:61], 0                                      // 000000003DBC: BEBC0180
	v_readlane_b32 s82, v3, 6                                  // 000000003DC0: D2890052 00010D03
	s_and_b32 s82, s82, 0xffffff                               // 000000003DC8: 8652FF52 00FFFFFF
	s_cmp_lt_u32 s82, s66                                      // 000000003DD0: BF0A4252
	s_cselect_b32 s20, s36, s60                                // 000000003DD4: 85143C24
	v_readlane_b32 s82, v3, 7                                  // 000000003DD8: D2890052 00010F03
	s_and_b32 s82, s82, 0xffffff                               // 000000003DE0: 8652FF52 00FFFFFF
	s_cmp_lt_u32 s82, s66                                      // 000000003DE8: BF0A4252
	s_cselect_b32 s21, s36, s60                                // 000000003DEC: 85153C24
	s_mov_b64 exec, s[20:21]                                   // 000000003DF0: BEFE0114
	global_atomic_add_f32 v6, v49, s[8:9]                      // 000000003DF4: DD348000 00083106
	s_mov_b64 exec, s[36:37]                                   // 000000003DFC: BEFE0124
	ds_write_b64 v20, v[46:47]                                 // 000000003E00: D89A0000 00002E14
	ds_write_b64 v20, v[50:51] offset:2176                     // 000000003E08: D89A0880 00003214
	s_waitcnt lgkmcnt(0)                                       // 000000003E10: BF8CC07F
	s_barrier                                                  // 000000003E14: BF8A0000
	ds_read_b32 v46, v21                                       // 000000003E18: D86C0000 2E000015
	ds_read_b32 v47, v21 offset:64                             // 000000003E20: D86C0040 2F000015
	ds_read_b32 v50, v21 offset:2176                           // 000000003E28: D86C0880 32000015
	ds_read_b32 v51, v21 offset:2240                           // 000000003E30: D86C08C0 33000015
	s_waitcnt lgkmcnt(0)                                       // 000000003E38: BF8CC07F
	v_mov_b32_e32 v7, 0                                        // 000000003E3C: 7E0E0280
	s_mov_b64 exec, s[36:37]                                   // 000000003E40: BEFE0124
	v_mov_b32_e32 v6, v36                                      // 000000003E44: 7E0C0324
	s_mov_b64 s[60:61], 0                                      // 000000003E48: BEBC0180
	v_readlane_b32 s82, v3, 0                                  // 000000003E4C: D2890052 00010103
	s_and_b32 s82, s82, 0xffffff                               // 000000003E54: 8652FF52 00FFFFFF
	s_cmp_lt_u32 s82, s66                                      // 000000003E5C: BF0A4252
	s_cselect_b32 s20, s36, s60                                // 000000003E60: 85143C24
	v_readlane_b32 s82, v3, 1                                  // 000000003E64: D2890052 00010303
	s_and_b32 s82, s82, 0xffffff                               // 000000003E6C: 8652FF52 00FFFFFF
	s_cmp_lt_u32 s82, s66                                      // 000000003E74: BF0A4252
	s_cselect_b32 s21, s36, s60                                // 000000003E78: 85153C24
	s_mov_b64 exec, s[20:21]                                   // 000000003E7C: BEFE0114
	global_atomic_add_f32 v6, v46, s[8:9] offset:8             // 000000003E80: DD348008 00082E06
	s_mov_b64 exec, s[36:37]                                   // 000000003E88: BEFE0124
	v_mov_b32_e32 v6, v37                                      // 000000003E8C: 7E0C0325
	s_mov_b64 s[60:61], 0                                      // 000000003E90: BEBC0180
	v_readlane_b32 s82, v3, 2                                  // 000000003E94: D2890052 00010503
	s_and_b32 s82, s82, 0xffffff                               // 000000003E9C: 8652FF52 00FFFFFF
	s_cmp_lt_u32 s82, s66                                      // 000000003EA4: BF0A4252
	s_cselect_b32 s20, s36, s60                                // 000000003EA8: 85143C24
	v_readlane_b32 s82, v3, 3                                  // 000000003EAC: D2890052 00010703
	s_and_b32 s82, s82, 0xffffff                               // 000000003EB4: 8652FF52 00FFFFFF
	s_cmp_lt_u32 s82, s66                                      // 000000003EBC: BF0A4252
	s_cselect_b32 s21, s36, s60                                // 000000003EC0: 85153C24
	s_mov_b64 exec, s[20:21]                                   // 000000003EC4: BEFE0114
	global_atomic_add_f32 v6, v47, s[8:9] offset:8             // 000000003EC8: DD348008 00082F06
	s_mov_b64 exec, s[36:37]                                   // 000000003ED0: BEFE0124
	v_mov_b32_e32 v6, v38                                      // 000000003ED4: 7E0C0326
	s_mov_b64 s[60:61], 0                                      // 000000003ED8: BEBC0180
	v_readlane_b32 s82, v3, 4                                  // 000000003EDC: D2890052 00010903
	s_and_b32 s82, s82, 0xffffff                               // 000000003EE4: 8652FF52 00FFFFFF
	s_cmp_lt_u32 s82, s66                                      // 000000003EEC: BF0A4252
	s_cselect_b32 s20, s36, s60                                // 000000003EF0: 85143C24
	v_readlane_b32 s82, v3, 5                                  // 000000003EF4: D2890052 00010B03
	s_and_b32 s82, s82, 0xffffff                               // 000000003EFC: 8652FF52 00FFFFFF
	s_cmp_lt_u32 s82, s66                                      // 000000003F04: BF0A4252
	s_cselect_b32 s21, s36, s60                                // 000000003F08: 85153C24
	s_mov_b64 exec, s[20:21]                                   // 000000003F0C: BEFE0114
	global_atomic_add_f32 v6, v50, s[8:9] offset:8             // 000000003F10: DD348008 00083206
	s_mov_b64 exec, s[36:37]                                   // 000000003F18: BEFE0124
	v_mov_b32_e32 v6, v39                                      // 000000003F1C: 7E0C0327
	s_mov_b64 s[60:61], 0                                      // 000000003F20: BEBC0180
	v_readlane_b32 s82, v3, 6                                  // 000000003F24: D2890052 00010D03
	s_and_b32 s82, s82, 0xffffff                               // 000000003F2C: 8652FF52 00FFFFFF
	s_cmp_lt_u32 s82, s66                                      // 000000003F34: BF0A4252
	s_cselect_b32 s20, s36, s60                                // 000000003F38: 85143C24
	v_readlane_b32 s82, v3, 7                                  // 000000003F3C: D2890052 00010F03
	s_and_b32 s82, s82, 0xffffff                               // 000000003F44: 8652FF52 00FFFFFF
	s_cmp_lt_u32 s82, s66                                      // 000000003F4C: BF0A4252
	s_cselect_b32 s21, s36, s60                                // 000000003F50: 85153C24
	s_mov_b64 exec, s[20:21]                                   // 000000003F54: BEFE0114
	global_atomic_add_f32 v6, v51, s[8:9] offset:8             // 000000003F58: DD348008 00083306
	s_mov_b64 exec, s[36:37]                                   // 000000003F60: BEFE0124
	ds_write_b64 v20, v[52:53]                                 // 000000003F64: D89A0000 00003414
	ds_write_b64 v20, v[56:57] offset:2176                     // 000000003F6C: D89A0880 00003814
	s_waitcnt lgkmcnt(0)                                       // 000000003F74: BF8CC07F
	s_barrier                                                  // 000000003F78: BF8A0000
	ds_read_b32 v52, v21                                       // 000000003F7C: D86C0000 34000015
	ds_read_b32 v53, v21 offset:64                             // 000000003F84: D86C0040 35000015
	ds_read_b32 v56, v21 offset:2176                           // 000000003F8C: D86C0880 38000015
	ds_read_b32 v57, v21 offset:2240                           // 000000003F94: D86C08C0 39000015
	s_mul_i32 s60, s65, 4                                      // 000000003F9C: 923C8441
	s_add_u32 s8, s60, s8                                      // 000000003FA0: 8008083C
	s_addc_u32 s9, 0, s9                                       // 000000003FA4: 82090980
	s_waitcnt lgkmcnt(0)                                       // 000000003FA8: BF8CC07F
	v_mov_b32_e32 v7, 0                                        // 000000003FAC: 7E0E0280
	s_mov_b64 exec, s[36:37]                                   // 000000003FB0: BEFE0124
	v_mov_b32_e32 v6, v36                                      // 000000003FB4: 7E0C0324
	s_mov_b64 s[60:61], 0                                      // 000000003FB8: BEBC0180
	v_readlane_b32 s82, v3, 0                                  // 000000003FBC: D2890052 00010103
	s_and_b32 s82, s82, 0xffffff                               // 000000003FC4: 8652FF52 00FFFFFF
	s_cmp_lt_u32 s82, s66                                      // 000000003FCC: BF0A4252
	s_cselect_b32 s20, s36, s60                                // 000000003FD0: 85143C24
	v_readlane_b32 s82, v3, 1                                  // 000000003FD4: D2890052 00010303
	s_and_b32 s82, s82, 0xffffff                               // 000000003FDC: 8652FF52 00FFFFFF
	s_cmp_lt_u32 s82, s66                                      // 000000003FE4: BF0A4252
	s_cselect_b32 s21, s36, s60                                // 000000003FE8: 85153C24
	s_mov_b64 exec, s[20:21]                                   // 000000003FEC: BEFE0114
	global_atomic_add_f32 v6, v52, s[8:9]                      // 000000003FF0: DD348000 00083406
	s_mov_b64 exec, s[36:37]                                   // 000000003FF8: BEFE0124
	v_mov_b32_e32 v6, v37                                      // 000000003FFC: 7E0C0325
	s_mov_b64 s[60:61], 0                                      // 000000004000: BEBC0180
	v_readlane_b32 s82, v3, 2                                  // 000000004004: D2890052 00010503
	s_and_b32 s82, s82, 0xffffff                               // 00000000400C: 8652FF52 00FFFFFF
	s_cmp_lt_u32 s82, s66                                      // 000000004014: BF0A4252
	s_cselect_b32 s20, s36, s60                                // 000000004018: 85143C24
	v_readlane_b32 s82, v3, 3                                  // 00000000401C: D2890052 00010703
	s_and_b32 s82, s82, 0xffffff                               // 000000004024: 8652FF52 00FFFFFF
	s_cmp_lt_u32 s82, s66                                      // 00000000402C: BF0A4252
	s_cselect_b32 s21, s36, s60                                // 000000004030: 85153C24
	s_mov_b64 exec, s[20:21]                                   // 000000004034: BEFE0114
	global_atomic_add_f32 v6, v53, s[8:9]                      // 000000004038: DD348000 00083506
	s_mov_b64 exec, s[36:37]                                   // 000000004040: BEFE0124
	v_mov_b32_e32 v6, v38                                      // 000000004044: 7E0C0326
	s_mov_b64 s[60:61], 0                                      // 000000004048: BEBC0180
	v_readlane_b32 s82, v3, 4                                  // 00000000404C: D2890052 00010903
	s_and_b32 s82, s82, 0xffffff                               // 000000004054: 8652FF52 00FFFFFF
	s_cmp_lt_u32 s82, s66                                      // 00000000405C: BF0A4252
	s_cselect_b32 s20, s36, s60                                // 000000004060: 85143C24
	v_readlane_b32 s82, v3, 5                                  // 000000004064: D2890052 00010B03
	s_and_b32 s82, s82, 0xffffff                               // 00000000406C: 8652FF52 00FFFFFF
	s_cmp_lt_u32 s82, s66                                      // 000000004074: BF0A4252
	s_cselect_b32 s21, s36, s60                                // 000000004078: 85153C24
	s_mov_b64 exec, s[20:21]                                   // 00000000407C: BEFE0114
	global_atomic_add_f32 v6, v56, s[8:9]                      // 000000004080: DD348000 00083806
	s_mov_b64 exec, s[36:37]                                   // 000000004088: BEFE0124
	v_mov_b32_e32 v6, v39                                      // 00000000408C: 7E0C0327
	s_mov_b64 s[60:61], 0                                      // 000000004090: BEBC0180
	v_readlane_b32 s82, v3, 6                                  // 000000004094: D2890052 00010D03
	s_and_b32 s82, s82, 0xffffff                               // 00000000409C: 8652FF52 00FFFFFF
	s_cmp_lt_u32 s82, s66                                      // 0000000040A4: BF0A4252
	s_cselect_b32 s20, s36, s60                                // 0000000040A8: 85143C24
	v_readlane_b32 s82, v3, 7                                  // 0000000040AC: D2890052 00010F03
	s_and_b32 s82, s82, 0xffffff                               // 0000000040B4: 8652FF52 00FFFFFF
	s_cmp_lt_u32 s82, s66                                      // 0000000040BC: BF0A4252
	s_cselect_b32 s21, s36, s60                                // 0000000040C0: 85153C24
	s_mov_b64 exec, s[20:21]                                   // 0000000040C4: BEFE0114
	global_atomic_add_f32 v6, v57, s[8:9]                      // 0000000040C8: DD348000 00083906
	s_mov_b64 exec, s[36:37]                                   // 0000000040D0: BEFE0124
	ds_write_b64 v20, v[54:55]                                 // 0000000040D4: D89A0000 00003614
	ds_write_b64 v20, v[58:59] offset:2176                     // 0000000040DC: D89A0880 00003A14
	s_waitcnt lgkmcnt(0)                                       // 0000000040E4: BF8CC07F
	s_barrier                                                  // 0000000040E8: BF8A0000
	ds_read_b32 v54, v21                                       // 0000000040EC: D86C0000 36000015
	ds_read_b32 v55, v21 offset:64                             // 0000000040F4: D86C0040 37000015
	ds_read_b32 v58, v21 offset:2176                           // 0000000040FC: D86C0880 3A000015
	ds_read_b32 v59, v21 offset:2240                           // 000000004104: D86C08C0 3B000015
	s_waitcnt lgkmcnt(0)                                       // 00000000410C: BF8CC07F
	v_mov_b32_e32 v7, 0                                        // 000000004110: 7E0E0280
	s_mov_b64 exec, s[36:37]                                   // 000000004114: BEFE0124
	v_mov_b32_e32 v6, v36                                      // 000000004118: 7E0C0324
	s_mov_b64 s[60:61], 0                                      // 00000000411C: BEBC0180
	v_readlane_b32 s82, v3, 0                                  // 000000004120: D2890052 00010103
	s_and_b32 s82, s82, 0xffffff                               // 000000004128: 8652FF52 00FFFFFF
	s_cmp_lt_u32 s82, s66                                      // 000000004130: BF0A4252
	s_cselect_b32 s20, s36, s60                                // 000000004134: 85143C24
	v_readlane_b32 s82, v3, 1                                  // 000000004138: D2890052 00010303
	s_and_b32 s82, s82, 0xffffff                               // 000000004140: 8652FF52 00FFFFFF
	s_cmp_lt_u32 s82, s66                                      // 000000004148: BF0A4252
	s_cselect_b32 s21, s36, s60                                // 00000000414C: 85153C24
	s_mov_b64 exec, s[20:21]                                   // 000000004150: BEFE0114
	global_atomic_add_f32 v6, v54, s[8:9] offset:8             // 000000004154: DD348008 00083606
	s_mov_b64 exec, s[36:37]                                   // 00000000415C: BEFE0124
	v_mov_b32_e32 v6, v37                                      // 000000004160: 7E0C0325
	s_mov_b64 s[60:61], 0                                      // 000000004164: BEBC0180
	v_readlane_b32 s82, v3, 2                                  // 000000004168: D2890052 00010503
	s_and_b32 s82, s82, 0xffffff                               // 000000004170: 8652FF52 00FFFFFF
	s_cmp_lt_u32 s82, s66                                      // 000000004178: BF0A4252
	s_cselect_b32 s20, s36, s60                                // 00000000417C: 85143C24
	v_readlane_b32 s82, v3, 3                                  // 000000004180: D2890052 00010703
	s_and_b32 s82, s82, 0xffffff                               // 000000004188: 8652FF52 00FFFFFF
	s_cmp_lt_u32 s82, s66                                      // 000000004190: BF0A4252
	s_cselect_b32 s21, s36, s60                                // 000000004194: 85153C24
	s_mov_b64 exec, s[20:21]                                   // 000000004198: BEFE0114
	global_atomic_add_f32 v6, v55, s[8:9] offset:8             // 00000000419C: DD348008 00083706
	s_mov_b64 exec, s[36:37]                                   // 0000000041A4: BEFE0124
	v_mov_b32_e32 v6, v38                                      // 0000000041A8: 7E0C0326
	s_mov_b64 s[60:61], 0                                      // 0000000041AC: BEBC0180
	v_readlane_b32 s82, v3, 4                                  // 0000000041B0: D2890052 00010903
	s_and_b32 s82, s82, 0xffffff                               // 0000000041B8: 8652FF52 00FFFFFF
	s_cmp_lt_u32 s82, s66                                      // 0000000041C0: BF0A4252
	s_cselect_b32 s20, s36, s60                                // 0000000041C4: 85143C24
	v_readlane_b32 s82, v3, 5                                  // 0000000041C8: D2890052 00010B03
	s_and_b32 s82, s82, 0xffffff                               // 0000000041D0: 8652FF52 00FFFFFF
	s_cmp_lt_u32 s82, s66                                      // 0000000041D8: BF0A4252
	s_cselect_b32 s21, s36, s60                                // 0000000041DC: 85153C24
	s_mov_b64 exec, s[20:21]                                   // 0000000041E0: BEFE0114
	global_atomic_add_f32 v6, v58, s[8:9] offset:8             // 0000000041E4: DD348008 00083A06
	s_mov_b64 exec, s[36:37]                                   // 0000000041EC: BEFE0124
	v_mov_b32_e32 v6, v39                                      // 0000000041F0: 7E0C0327
	s_mov_b64 s[60:61], 0                                      // 0000000041F4: BEBC0180
	v_readlane_b32 s82, v3, 6                                  // 0000000041F8: D2890052 00010D03
	s_and_b32 s82, s82, 0xffffff                               // 000000004200: 8652FF52 00FFFFFF
	s_cmp_lt_u32 s82, s66                                      // 000000004208: BF0A4252
	s_cselect_b32 s20, s36, s60                                // 00000000420C: 85143C24
	v_readlane_b32 s82, v3, 7                                  // 000000004210: D2890052 00010F03
	s_and_b32 s82, s82, 0xffffff                               // 000000004218: 8652FF52 00FFFFFF
	s_cmp_lt_u32 s82, s66                                      // 000000004220: BF0A4252
	s_cselect_b32 s21, s36, s60                                // 000000004224: 85153C24
	s_mov_b64 exec, s[20:21]                                   // 000000004228: BEFE0114
	global_atomic_add_f32 v6, v59, s[8:9] offset:8             // 00000000422C: DD348008 00083B06
	s_mov_b64 exec, s[36:37]                                   // 000000004234: BEFE0124
	s_branch label_0A60                                        // 000000004238: BF82044E

000000000000423c <label_0612>:
	s_waitcnt vmcnt(0) lgkmcnt(0)                              // 00000000423C: BF8C0070
	s_barrier                                                  // 000000004240: BF8A0000
	v_mfma_f32_16x16x32_fp8_fp8 v[44:47], a[32:33], a[0:1], v[44:47]// 000000004244: D3F3002C 1CB20120
	buffer_load_dwordx4 a[40:43], v40, s[84:87], 0 offen       // 00000000424C: E05C1000 80952828
	v_mfma_f32_16x16x32_fp8_fp8 v[44:47], a[34:35], a[2:3], v[44:47]// 000000004254: D3F3002C 1CB20522
	v_mfma_f32_16x16x32_fp8_fp8 v[44:47], a[36:37], a[4:5], v[44:47]// 00000000425C: D3F3002C 1CB20924
	v_mfma_f32_16x16x32_fp8_fp8 v[44:47], a[38:39], a[6:7], v[44:47]// 000000004264: D3F3002C 1CB20D26
	v_mfma_f32_16x16x32_fp8_fp8 v[48:51], a[32:33], a[8:9], v[48:51]// 00000000426C: D3F30030 1CC21120
	buffer_load_dwordx4 a[44:47], v40, s[84:87], 0 offen offset:1024// 000000004274: E05C1400 80952C28
	buffer_load_dword v36, s[20:23], 0 offen lds               // 00000000427C: E0511000 80050024
	s_add_u32 m0, 0x100, s48                                   // 000000004284: 807C30FF 00000100
	v_mfma_f32_16x16x32_fp8_fp8 v[48:51], a[34:35], a[10:11], v[48:51]// 00000000428C: D3F30030 1CC21522
	s_add_u32 s60, 0x80, s80                                   // 000000004294: 803C50FF 00000080
	s_cmp_lt_u32 s60, s81                                      // 00000000429C: BF0A513C
	s_cselect_b32 s83, s83, 0                                  // 0000000042A0: 85538053
	v_mfma_f32_16x16x32_fp8_fp8 v[48:51], a[36:37], a[12:13], v[48:51]// 0000000042A4: D3F30030 1CC21924
	buffer_load_dword v37, s[20:23], 0 offen lds               // 0000000042AC: E0511000 80050025
	s_add_u32 m0, 0x200, s48                                   // 0000000042B4: 807C30FF 00000200
	v_mfma_f32_16x16x32_fp8_fp8 v[48:51], a[38:39], a[14:15], v[48:51]// 0000000042BC: D3F30030 1CC21D26
	buffer_load_dword v38, s[20:23], 0 offen lds               // 0000000042C4: E0511000 80050026
	s_add_u32 m0, 0x300, s48                                   // 0000000042CC: 807C30FF 00000300
	buffer_load_dword v39, s[20:23], 0 offen lds               // 0000000042D4: E0511000 80050027
	s_add_u32 m0, 0, s49                                       // 0000000042DC: 807C3180
	s_waitcnt vmcnt(4)                                         // 0000000042E0: BF8C0F74
	v_mfma_f32_16x16x32_fp8_fp8 v[52:55], a[40:41], a[0:1], v[52:55]// 0000000042E4: D3F30034 1CD20128
	buffer_load_dwordx4 a[32:35], v40, s[24:27], 0 offen       // 0000000042EC: E05C1000 80862028
	v_mfma_f32_16x16x32_fp8_fp8 v[52:55], a[42:43], a[2:3], v[52:55]// 0000000042F4: D3F30034 1CD2052A
	v_mfma_f32_16x16x32_fp8_fp8 v[52:55], a[44:45], a[4:5], v[52:55]// 0000000042FC: D3F30034 1CD2092C
	ds_read_b128 a[16:19], v2 offset:4224                      // 000000004304: DBFE1080 10000002
	ds_read_b128 a[20:23], v2 offset:4288                      // 00000000430C: DBFE10C0 14000002
	s_add_u32 s60, 0x180, s80                                  // 000000004314: 803C50FF 00000180
	s_cmp_lt_u32 s60, s81                                      // 00000000431C: BF0A513C
	s_cselect_b32 s57, s57, 0                                  // 000000004320: 85398039
	v_mfma_f32_16x16x32_fp8_fp8 v[52:55], a[46:47], a[6:7], v[52:55]// 000000004324: D3F30034 1CD20D2E
	s_add_u32 s60, 0x100, s80                                  // 00000000432C: 803C50FF 00000100
	s_cmp_lt_u32 s60, s81                                      // 000000004334: BF0A513C
	s_cselect_b32 s58, s58, 0                                  // 000000004338: 853A803A
	v_mfma_f32_16x16x32_fp8_fp8 v[56:59], a[40:41], a[8:9], v[56:59]// 00000000433C: D3F30038 1CE21128
	buffer_load_dwordx4 a[36:39], v40, s[24:27], 0 offen offset:1024// 000000004344: E05C1400 80862428
	s_add_u32 s24, s58, s24                                    // 00000000434C: 8018183A
	s_addc_u32 s25, 0, s25                                     // 000000004350: 82191980
	v_mfma_f32_16x16x32_fp8_fp8 v[56:59], a[42:43], a[10:11], v[56:59]// 000000004354: D3F30038 1CE2152A
	s_add_u32 s20, s57, s20                                    // 00000000435C: 80141439
	s_addc_u32 s21, 0, s21                                     // 000000004360: 82151580
	v_mfma_f32_16x16x32_fp8_fp8 v[56:59], a[44:45], a[12:13], v[56:59]// 000000004364: D3F30038 1CE2192C
	ds_read_b128 a[24:27], v2 offset:4736                      // 00000000436C: DBFE1280 18000002
	ds_read_b128 a[28:31], v2 offset:4800                      // 000000004374: DBFE12C0 1C000002
	s_add_u32 s84, s83, s84                                    // 00000000437C: 80545453
	s_addc_u32 s85, 0, s85                                     // 000000004380: 82555580
	v_mfma_f32_16x16x32_fp8_fp8 v[56:59], a[46:47], a[14:15], v[56:59]// 000000004384: D3F30038 1CE21D2E
	s_addk_i32 s80, 0x80                                       // 00000000438C: B7500080
	s_cmp_lt_i32 s80, s81                                      // 000000004390: BF045150
	s_cbranch_scc0 label_06C1                                  // 000000004394: BF840058
	s_waitcnt vmcnt(0) lgkmcnt(0)                              // 000000004398: BF8C0070
	s_barrier                                                  // 00000000439C: BF8A0000
	v_mfma_f32_16x16x32_fp8_fp8 v[44:47], a[32:33], a[16:17], v[44:47]// 0000000043A0: D3F3002C 1CB22120
	buffer_load_dwordx4 a[40:43], v40, s[84:87], 0 offen       // 0000000043A8: E05C1000 80952828
	v_mfma_f32_16x16x32_fp8_fp8 v[44:47], a[34:35], a[18:19], v[44:47]// 0000000043B0: D3F3002C 1CB22522
	v_mfma_f32_16x16x32_fp8_fp8 v[44:47], a[36:37], a[20:21], v[44:47]// 0000000043B8: D3F3002C 1CB22924
	v_mfma_f32_16x16x32_fp8_fp8 v[44:47], a[38:39], a[22:23], v[44:47]// 0000000043C0: D3F3002C 1CB22D26
	v_mfma_f32_16x16x32_fp8_fp8 v[48:51], a[32:33], a[24:25], v[48:51]// 0000000043C8: D3F30030 1CC23120
	buffer_load_dwordx4 a[44:47], v40, s[84:87], 0 offen offset:1024// 0000000043D0: E05C1400 80952C28
	buffer_load_dword v36, s[20:23], 0 offen lds               // 0000000043D8: E0511000 80050024
	s_add_u32 m0, 0x100, s49                                   // 0000000043E0: 807C31FF 00000100
	v_mfma_f32_16x16x32_fp8_fp8 v[48:51], a[34:35], a[26:27], v[48:51]// 0000000043E8: D3F30030 1CC23522
	s_add_u32 s60, 0x80, s80                                   // 0000000043F0: 803C50FF 00000080
	s_cmp_lt_u32 s60, s81                                      // 0000000043F8: BF0A513C
	s_cselect_b32 s83, s83, 0                                  // 0000000043FC: 85538053
	v_mfma_f32_16x16x32_fp8_fp8 v[48:51], a[36:37], a[28:29], v[48:51]// 000000004400: D3F30030 1CC23924
	buffer_load_dword v37, s[20:23], 0 offen lds               // 000000004408: E0511000 80050025
	s_add_u32 m0, 0x200, s49                                   // 000000004410: 807C31FF 00000200
	v_mfma_f32_16x16x32_fp8_fp8 v[48:51], a[38:39], a[30:31], v[48:51]// 000000004418: D3F30030 1CC23D26
	buffer_load_dword v38, s[20:23], 0 offen lds               // 000000004420: E0511000 80050026
	s_add_u32 m0, 0x300, s49                                   // 000000004428: 807C31FF 00000300
	buffer_load_dword v39, s[20:23], 0 offen lds               // 000000004430: E0511000 80050027
	s_add_u32 m0, 0, s48                                       // 000000004438: 807C3080
	s_waitcnt vmcnt(4)                                         // 00000000443C: BF8C0F74
	v_mfma_f32_16x16x32_fp8_fp8 v[52:55], a[40:41], a[16:17], v[52:55]// 000000004440: D3F30034 1CD22128
	buffer_load_dwordx4 a[32:35], v40, s[24:27], 0 offen       // 000000004448: E05C1000 80862028
	v_mfma_f32_16x16x32_fp8_fp8 v[52:55], a[42:43], a[18:19], v[52:55]// 000000004450: D3F30034 1CD2252A
	v_mfma_f32_16x16x32_fp8_fp8 v[52:55], a[44:45], a[20:21], v[52:55]// 000000004458: D3F30034 1CD2292C
	ds_read_b128 a[0:3], v2                                    // 000000004460: DBFE0000 00000002
	ds_read_b128 a[4:7], v2 offset:64                          // 000000004468: DBFE0040 04000002
	s_add_u32 s60, 0x180, s80                                  // 000000004470: 803C50FF 00000180
	s_cmp_lt_u32 s60, s81                                      // 000000004478: BF0A513C
	s_cselect_b32 s57, s57, 0                                  // 00000000447C: 85398039
	v_mfma_f32_16x16x32_fp8_fp8 v[52:55], a[46:47], a[22:23], v[52:55]// 000000004480: D3F30034 1CD22D2E
	s_add_u32 s60, 0x100, s80                                  // 000000004488: 803C50FF 00000100
	s_cmp_lt_u32 s60, s81                                      // 000000004490: BF0A513C
	s_cselect_b32 s58, s58, 0                                  // 000000004494: 853A803A
	v_mfma_f32_16x16x32_fp8_fp8 v[56:59], a[40:41], a[24:25], v[56:59]// 000000004498: D3F30038 1CE23128
	buffer_load_dwordx4 a[36:39], v40, s[24:27], 0 offen offset:1024// 0000000044A0: E05C1400 80862428
	s_add_u32 s24, s58, s24                                    // 0000000044A8: 8018183A
	s_addc_u32 s25, 0, s25                                     // 0000000044AC: 82191980
	v_mfma_f32_16x16x32_fp8_fp8 v[56:59], a[42:43], a[26:27], v[56:59]// 0000000044B0: D3F30038 1CE2352A
	s_add_u32 s20, s57, s20                                    // 0000000044B8: 80141439
	s_addc_u32 s21, 0, s21                                     // 0000000044BC: 82151580
	v_mfma_f32_16x16x32_fp8_fp8 v[56:59], a[44:45], a[28:29], v[56:59]// 0000000044C0: D3F30038 1CE2392C
	ds_read_b128 a[8:11], v2 offset:512                        // 0000000044C8: DBFE0200 08000002
	ds_read_b128 a[12:15], v2 offset:576                       // 0000000044D0: DBFE0240 0C000002
	s_add_u32 s84, s83, s84                                    // 0000000044D8: 80545453
	s_addc_u32 s85, 0, s85                                     // 0000000044DC: 82555580
	v_mfma_f32_16x16x32_fp8_fp8 v[56:59], a[46:47], a[30:31], v[56:59]// 0000000044E0: D3F30038 1CE23D2E
	s_addk_i32 s80, 0x80                                       // 0000000044E8: B7500080
	s_cmp_lt_i32 s80, s81                                      // 0000000044EC: BF045150
	s_cbranch_scc0 label_06C1                                  // 0000000044F0: BF840001
	s_branch label_0612                                        // 0000000044F4: BF82FF51

00000000000044f8 <label_06C1>:
	v_mul_f32_dpp v44, v24, v44 row_newbcast:0 row_mask:0xf bank_mask:0xf// 0000000044F8: 0A5858FA FF015018
	v_mul_f32_dpp v45, v24, v45 row_newbcast:1 row_mask:0xf bank_mask:0xf// 000000004500: 0A5A5AFA FF015118
	v_mul_f32_dpp v46, v24, v46 row_newbcast:2 row_mask:0xf bank_mask:0xf// 000000004508: 0A5C5CFA FF015218
	v_mul_f32_dpp v47, v24, v47 row_newbcast:3 row_mask:0xf bank_mask:0xf// 000000004510: 0A5E5EFA FF015318
	v_mul_f32_dpp v48, v24, v48 row_newbcast:0 row_mask:0xf bank_mask:0xf// 000000004518: 0A6060FA FF015018
	v_mul_f32_dpp v49, v24, v49 row_newbcast:1 row_mask:0xf bank_mask:0xf// 000000004520: 0A6262FA FF015118
	v_mul_f32_dpp v50, v24, v50 row_newbcast:2 row_mask:0xf bank_mask:0xf// 000000004528: 0A6464FA FF015218
	v_mul_f32_dpp v51, v24, v51 row_newbcast:3 row_mask:0xf bank_mask:0xf// 000000004530: 0A6666FA FF015318
	v_mul_f32_dpp v52, v26, v52 row_newbcast:0 row_mask:0xf bank_mask:0xf// 000000004538: 0A6868FA FF01501A
	v_mul_f32_dpp v53, v26, v53 row_newbcast:1 row_mask:0xf bank_mask:0xf// 000000004540: 0A6A6AFA FF01511A
	v_mul_f32_dpp v54, v26, v54 row_newbcast:2 row_mask:0xf bank_mask:0xf// 000000004548: 0A6C6CFA FF01521A
	v_mul_f32_dpp v55, v26, v55 row_newbcast:3 row_mask:0xf bank_mask:0xf// 000000004550: 0A6E6EFA FF01531A
	v_mul_f32_dpp v56, v26, v56 row_newbcast:0 row_mask:0xf bank_mask:0xf// 000000004558: 0A7070FA FF01501A
	v_mul_f32_dpp v57, v26, v57 row_newbcast:1 row_mask:0xf bank_mask:0xf// 000000004560: 0A7272FA FF01511A
	v_mul_f32_dpp v58, v26, v58 row_newbcast:2 row_mask:0xf bank_mask:0xf// 000000004568: 0A7474FA FF01521A
	v_mul_f32_dpp v59, v26, v59 row_newbcast:3 row_mask:0xf bank_mask:0xf// 000000004570: 0A7676FA FF01531A
	v_mul_f32_e32 v30, v30, v60                                // 000000004578: 0A3C791E
	v_mov_b32_e32 v4, v30                                      // 00000000457C: 7E08031E
	v_mov_b32_e32 v5, v4                                       // 000000004580: 7E0A0304
	v_pk_mul_f32 v[44:45], v[4:5], v[44:45]                    // 000000004584: D3B1402C 18025904
	v_pk_mul_f32 v[52:53], v[4:5], v[52:53]                    // 00000000458C: D3B14034 18026904
	v_pk_mul_f32 v[46:47], v[4:5], v[46:47]                    // 000000004594: D3B1402E 18025D04
	v_pk_mul_f32 v[54:55], v[4:5], v[54:55]                    // 00000000459C: D3B14036 18026D04
	v_mul_f32_e32 v31, v31, v61                                // 0000000045A4: 0A3E7B1F
	v_mov_b32_e32 v4, v31                                      // 0000000045A8: 7E08031F
	v_mov_b32_e32 v5, v4                                       // 0000000045AC: 7E0A0304
	v_pk_mul_f32 v[48:49], v[4:5], v[48:49]                    // 0000000045B0: D3B14030 18026104
	v_pk_mul_f32 v[56:57], v[4:5], v[56:57]                    // 0000000045B8: D3B14038 18027104
	v_pk_mul_f32 v[50:51], v[4:5], v[50:51]                    // 0000000045C0: D3B14032 18026504
	v_pk_mul_f32 v[58:59], v[4:5], v[58:59]                    // 0000000045C8: D3B1403A 18027504
	s_cmp_eq_u32 s88, 0                                        // 0000000045D0: BF068058
	s_cbranch_scc0 label_088E                                  // 0000000045D4: BF840195
	s_cmp_eq_u32 s89, 0                                        // 0000000045D8: BF068059
	s_cbranch_scc1 label_0750                                  // 0000000045DC: BF850055
	v_mov_b32_e32 v8, v1                                       // 0000000045E0: 7E100301
	v_mov_b32_e32 v9, v1                                       // 0000000045E4: 7E120301
	s_mov_b32 s60, s6                                          // 0000000045E8: BEBC0006
	s_mov_b32 s61, s6                                          // 0000000045EC: BEBD0006
	v_pk_mul_f32 v[4:5], v[44:45], v[44:45]                    // 0000000045F0: D3B14004 1802592C
	v_pk_mul_f32 v[6:7], v[46:47], v[46:47]                    // 0000000045F8: D3B14006 18025D2E
	v_pk_fma_f32 v[4:5], v[4:5], s[78:79], v[8:9]              // 000000004600: D3B04004 1C209D04
	v_pk_fma_f32 v[6:7], v[6:7], s[78:79], v[8:9]              // 000000004608: D3B04006 1C209D06
	v_pk_mul_f32 v[4:5], v[4:5], v[44:45]                      // 000000004610: D3B14004 18025904
	v_pk_mul_f32 v[6:7], v[6:7], v[46:47]                      // 000000004618: D3B14006 18025D06
	v_pk_mul_f32 v[4:5], v[4:5], s[60:61]                      // 000000004620: D3B14004 18007904
	v_pk_mul_f32 v[6:7], v[6:7], s[60:61]                      // 000000004628: D3B14006 18007906
	v_exp_f32_e32 v4, v4                                       // 000000004630: 7E084104
	v_exp_f32_e32 v5, v5                                       // 000000004634: 7E0A4105
	v_exp_f32_e32 v6, v6                                       // 000000004638: 7E0C4106
	v_exp_f32_e32 v7, v7                                       // 00000000463C: 7E0E4107
	v_add_f32_e64 v4, v4, 1.0                                  // 000000004640: D1010004 0001E504
	v_add_f32_e64 v5, v5, 1.0                                  // 000000004648: D1010005 0001E505
	v_add_f32_e64 v6, v6, 1.0                                  // 000000004650: D1010006 0001E506
	v_add_f32_e64 v7, v7, 1.0                                  // 000000004658: D1010007 0001E507
	v_rcp_f32_e32 v4, v4                                       // 000000004660: 7E084504
	v_rcp_f32_e32 v5, v5                                       // 000000004664: 7E0A4505
	v_rcp_f32_e32 v6, v6                                       // 000000004668: 7E0C4506
	v_rcp_f32_e32 v7, v7                                       // 00000000466C: 7E0E4507
	v_mul_f32_e32 v44, v44, v4                                 // 000000004670: 0A58092C
	v_mul_f32_e32 v45, v45, v5                                 // 000000004674: 0A5A0B2D
	v_mul_f32_e32 v46, v46, v6                                 // 000000004678: 0A5C0D2E
	v_mul_f32_e32 v47, v47, v7                                 // 00000000467C: 0A5E0F2F
	v_mul_f32_e32 v44, v44, v52                                // 000000004680: 0A58692C
	v_mul_f32_e32 v45, v45, v53                                // 000000004684: 0A5A6B2D
	v_mul_f32_e32 v46, v46, v54                                // 000000004688: 0A5C6D2E
	v_mul_f32_e32 v47, v47, v55                                // 00000000468C: 0A5E6F2F
	v_pk_mul_f32 v[4:5], v[48:49], v[48:49]                    // 000000004690: D3B14004 18026130
	v_pk_mul_f32 v[6:7], v[50:51], v[50:51]                    // 000000004698: D3B14006 18026532
	v_pk_fma_f32 v[4:5], v[4:5], s[78:79], v[8:9]              // 0000000046A0: D3B04004 1C209D04
	v_pk_fma_f32 v[6:7], v[6:7], s[78:79], v[8:9]              // 0000000046A8: D3B04006 1C209D06
	v_pk_mul_f32 v[4:5], v[4:5], v[48:49]                      // 0000000046B0: D3B14004 18026104
	v_pk_mul_f32 v[6:7], v[6:7], v[50:51]                      // 0000000046B8: D3B14006 18026506
	v_pk_mul_f32 v[4:5], v[4:5], s[60:61]                      // 0000000046C0: D3B14004 18007904
	v_pk_mul_f32 v[6:7], v[6:7], s[60:61]                      // 0000000046C8: D3B14006 18007906
	v_exp_f32_e32 v4, v4                                       // 0000000046D0: 7E084104
	v_exp_f32_e32 v5, v5                                       // 0000000046D4: 7E0A4105
	v_exp_f32_e32 v6, v6                                       // 0000000046D8: 7E0C4106
	v_exp_f32_e32 v7, v7                                       // 0000000046DC: 7E0E4107
	v_add_f32_e64 v4, v4, 1.0                                  // 0000000046E0: D1010004 0001E504
	v_add_f32_e64 v5, v5, 1.0                                  // 0000000046E8: D1010005 0001E505
	v_add_f32_e64 v6, v6, 1.0                                  // 0000000046F0: D1010006 0001E506
	v_add_f32_e64 v7, v7, 1.0                                  // 0000000046F8: D1010007 0001E507
	v_rcp_f32_e32 v4, v4                                       // 000000004700: 7E084504
	v_rcp_f32_e32 v5, v5                                       // 000000004704: 7E0A4505
	v_rcp_f32_e32 v6, v6                                       // 000000004708: 7E0C4506
	v_rcp_f32_e32 v7, v7                                       // 00000000470C: 7E0E4507
	v_mul_f32_e32 v48, v48, v4                                 // 000000004710: 0A600930
	v_mul_f32_e32 v49, v49, v5                                 // 000000004714: 0A620B31
	v_mul_f32_e32 v50, v50, v6                                 // 000000004718: 0A640D32
	v_mul_f32_e32 v51, v51, v7                                 // 00000000471C: 0A660F33
	v_mul_f32_e32 v48, v48, v56                                // 000000004720: 0A607130
	v_mul_f32_e32 v49, v49, v57                                // 000000004724: 0A627331
	v_mul_f32_e32 v50, v50, v58                                // 000000004728: 0A647532
	v_mul_f32_e32 v51, v51, v59                                // 00000000472C: 0A667733
	s_branch label_0790                                        // 000000004730: BF820040

0000000000004734 <label_0750>:
	v_mul_f32_e64 v4, -v44, s6                                 // 000000004734: D1050004 20000D2C
	v_mul_f32_e64 v5, -v45, s6                                 // 00000000473C: D1050005 20000D2D
	v_mul_f32_e64 v6, -v46, s6                                 // 000000004744: D1050006 20000D2E
	v_mul_f32_e64 v7, -v47, s6                                 // 00000000474C: D1050007 20000D2F
	v_exp_f32_e32 v4, v4                                       // 000000004754: 7E084104
	v_exp_f32_e32 v5, v5                                       // 000000004758: 7E0A4105
	v_exp_f32_e32 v6, v6                                       // 00000000475C: 7E0C4106
	v_exp_f32_e32 v7, v7                                       // 000000004760: 7E0E4107
	v_add_f32_e64 v4, v4, 1.0                                  // 000000004764: D1010004 0001E504
	v_add_f32_e64 v5, v5, 1.0                                  // 00000000476C: D1010005 0001E505
	v_add_f32_e64 v6, v6, 1.0                                  // 000000004774: D1010006 0001E506
	v_add_f32_e64 v7, v7, 1.0                                  // 00000000477C: D1010007 0001E507
	v_rcp_f32_e32 v4, v4                                       // 000000004784: 7E084504
	v_rcp_f32_e32 v5, v5                                       // 000000004788: 7E0A4505
	v_rcp_f32_e32 v6, v6                                       // 00000000478C: 7E0C4506
	v_rcp_f32_e32 v7, v7                                       // 000000004790: 7E0E4507
	v_mul_f32_e32 v44, v44, v4                                 // 000000004794: 0A58092C
	v_mul_f32_e32 v45, v45, v5                                 // 000000004798: 0A5A0B2D
	v_mul_f32_e32 v46, v46, v6                                 // 00000000479C: 0A5C0D2E
	v_mul_f32_e32 v47, v47, v7                                 // 0000000047A0: 0A5E0F2F
	v_mul_f32_e32 v44, v44, v52                                // 0000000047A4: 0A58692C
	v_mul_f32_e32 v45, v45, v53                                // 0000000047A8: 0A5A6B2D
	v_mul_f32_e32 v46, v46, v54                                // 0000000047AC: 0A5C6D2E
	v_mul_f32_e32 v47, v47, v55                                // 0000000047B0: 0A5E6F2F
	v_mul_f32_e64 v4, -v48, s6                                 // 0000000047B4: D1050004 20000D30
	v_mul_f32_e64 v5, -v49, s6                                 // 0000000047BC: D1050005 20000D31
	v_mul_f32_e64 v6, -v50, s6                                 // 0000000047C4: D1050006 20000D32
	v_mul_f32_e64 v7, -v51, s6                                 // 0000000047CC: D1050007 20000D33
	v_exp_f32_e32 v4, v4                                       // 0000000047D4: 7E084104
	v_exp_f32_e32 v5, v5                                       // 0000000047D8: 7E0A4105
	v_exp_f32_e32 v6, v6                                       // 0000000047DC: 7E0C4106
	v_exp_f32_e32 v7, v7                                       // 0000000047E0: 7E0E4107
	v_add_f32_e64 v4, v4, 1.0                                  // 0000000047E4: D1010004 0001E504
	v_add_f32_e64 v5, v5, 1.0                                  // 0000000047EC: D1010005 0001E505
	v_add_f32_e64 v6, v6, 1.0                                  // 0000000047F4: D1010006 0001E506
	v_add_f32_e64 v7, v7, 1.0                                  // 0000000047FC: D1010007 0001E507
	v_rcp_f32_e32 v4, v4                                       // 000000004804: 7E084504
	v_rcp_f32_e32 v5, v5                                       // 000000004808: 7E0A4505
	v_rcp_f32_e32 v6, v6                                       // 00000000480C: 7E0C4506
	v_rcp_f32_e32 v7, v7                                       // 000000004810: 7E0E4507
	v_mul_f32_e32 v48, v48, v4                                 // 000000004814: 0A600930
	v_mul_f32_e32 v49, v49, v5                                 // 000000004818: 0A620B31
	v_mul_f32_e32 v50, v50, v6                                 // 00000000481C: 0A640D32
	v_mul_f32_e32 v51, v51, v7                                 // 000000004820: 0A660F33
	v_mul_f32_e32 v48, v48, v56                                // 000000004824: 0A607130
	v_mul_f32_e32 v49, v49, v57                                // 000000004828: 0A627331
	v_mul_f32_e32 v50, v50, v58                                // 00000000482C: 0A647532
	v_mul_f32_e32 v51, v51, v59                                // 000000004830: 0A667733

0000000000004834 <label_0790>:
	v_cmp_u_f32_e64 s[46:47], v44, v44                         // 000000004834: D048002E 0002592C
	v_add3_u32 v16, v44, v19, 1                                // 00000000483C: D1FF0010 0206272C
	v_cndmask_b32_e64 v4, v16, v18, s[46:47]                   // 000000004844: D1000004 00BA2510
	v_cmp_u_f32_e64 s[46:47], v45, v45                         // 00000000484C: D048002E 00025B2D
	v_add3_u32 v16, v45, v19, 1                                // 000000004854: D1FF0010 0206272D
	v_cndmask_b32_e64 v5, v16, v18, s[46:47]                   // 00000000485C: D1000005 00BA2510
	v_perm_b32 v44, v5, v4, s52                                // 000000004864: D1ED002C 00D20905
	v_cmp_u_f32_e64 s[46:47], v46, v46                         // 00000000486C: D048002E 00025D2E
	v_add3_u32 v16, v46, v19, 1                                // 000000004874: D1FF0010 0206272E
	v_cndmask_b32_e64 v4, v16, v18, s[46:47]                   // 00000000487C: D1000004 00BA2510
	v_cmp_u_f32_e64 s[46:47], v47, v47                         // 000000004884: D048002E 00025F2F
	v_add3_u32 v16, v47, v19, 1                                // 00000000488C: D1FF0010 0206272F
	v_cndmask_b32_e64 v5, v16, v18, s[46:47]                   // 000000004894: D1000005 00BA2510
	v_perm_b32 v45, v5, v4, s52                                // 00000000489C: D1ED002D 00D20905
	v_cmp_u_f32_e64 s[46:47], v48, v48                         // 0000000048A4: D048002E 00026130
	v_add3_u32 v16, v48, v19, 1                                // 0000000048AC: D1FF0010 02062730
	v_cndmask_b32_e64 v4, v16, v18, s[46:47]                   // 0000000048B4: D1000004 00BA2510
	v_cmp_u_f32_e64 s[46:47], v49, v49                         // 0000000048BC: D048002E 00026331
	v_add3_u32 v16, v49, v19, 1                                // 0000000048C4: D1FF0010 02062731
	v_cndmask_b32_e64 v5, v16, v18, s[46:47]                   // 0000000048CC: D1000005 00BA2510
	v_perm_b32 v46, v5, v4, s52                                // 0000000048D4: D1ED002E 00D20905
	v_cmp_u_f32_e64 s[46:47], v50, v50                         // 0000000048DC: D048002E 00026532
	v_add3_u32 v16, v50, v19, 1                                // 0000000048E4: D1FF0010 02062732
	v_cndmask_b32_e64 v4, v16, v18, s[46:47]                   // 0000000048EC: D1000004 00BA2510
	v_cmp_u_f32_e64 s[46:47], v51, v51                         // 0000000048F4: D048002E 00026733
	v_add3_u32 v16, v51, v19, 1                                // 0000000048FC: D1FF0010 02062733
	v_cndmask_b32_e64 v5, v16, v18, s[46:47]                   // 000000004904: D1000005 00BA2510
	v_perm_b32 v47, v5, v4, s52                                // 00000000490C: D1ED002F 00D20905
	ds_write_b64 v20, v[44:45]                                 // 000000004914: D89A0000 00002C14
	ds_write_b64 v20, v[46:47] offset:2176                     // 00000000491C: D89A0880 00002E14
	v_lshrrev_b32_e32 v4, 5, v0                                // 000000004924: 20080085
	v_xor_b32_e32 v5, 1, v4                                    // 000000004928: 2A0A0881
	s_mul_i32 s60, s65, 2                                      // 00000000492C: 923C8241
	s_cmp_eq_u32 s88, 0                                        // 000000004930: BF068058
	s_cselect_b32 s61, 1, 4                                    // 000000004934: 853D8481
	s_mul_i32 s60, s61, s60                                    // 000000004938: 923C3C3D
	v_readlane_b32 s82, v3, 0                                  // 00000000493C: D2890052 00010103
	s_lshr_b32 s61, s82, 24                                    // 000000004944: 8F3D9852
	s_and_b32 s82, s82, 0xffffff                               // 000000004948: 8652FF52 00FFFFFF
	s_mul_i32 s82, s82, s71                                    // 000000004950: 92524752
	s_mul_i32 s61, s60, s61                                    // 000000004954: 923D3D3C
	s_add_u32 s82, s82, s61                                    // 000000004958: 80523D52
	v_mul_lo_u32 v6, v5, s82                                   // 00000000495C: D2850006 0000A505
	v_readlane_b32 s82, v3, 1                                  // 000000004964: D2890052 00010303
	s_lshr_b32 s61, s82, 24                                    // 00000000496C: 8F3D9852
	s_and_b32 s82, s82, 0xffffff                               // 000000004970: 8652FF52 00FFFFFF
	s_mul_i32 s82, s82, s71                                    // 000000004978: 92524752
	s_mul_i32 s61, s60, s61                                    // 00000000497C: 923D3D3C
	s_add_u32 s82, s82, s61                                    // 000000004980: 80523D52
	v_mul_lo_u32 v7, v4, s82                                   // 000000004984: D2850007 0000A504
	v_add_u32_e32 v36, v6, v7                                  // 00000000498C: 68480F06
	v_readlane_b32 s82, v3, 2                                  // 000000004990: D2890052 00010503
	s_lshr_b32 s61, s82, 24                                    // 000000004998: 8F3D9852
	s_and_b32 s82, s82, 0xffffff                               // 00000000499C: 8652FF52 00FFFFFF
	s_mul_i32 s82, s82, s71                                    // 0000000049A4: 92524752
	s_mul_i32 s61, s60, s61                                    // 0000000049A8: 923D3D3C
	s_add_u32 s82, s82, s61                                    // 0000000049AC: 80523D52
	v_mul_lo_u32 v6, v5, s82                                   // 0000000049B0: D2850006 0000A505
	v_readlane_b32 s82, v3, 3                                  // 0000000049B8: D2890052 00010703
	s_lshr_b32 s61, s82, 24                                    // 0000000049C0: 8F3D9852
	s_and_b32 s82, s82, 0xffffff                               // 0000000049C4: 8652FF52 00FFFFFF
	s_mul_i32 s82, s82, s71                                    // 0000000049CC: 92524752
	s_mul_i32 s61, s60, s61                                    // 0000000049D0: 923D3D3C
	s_add_u32 s82, s82, s61                                    // 0000000049D4: 80523D52
	v_mul_lo_u32 v7, v4, s82                                   // 0000000049D8: D2850007 0000A504
	v_add_u32_e32 v37, v6, v7                                  // 0000000049E0: 684A0F06
	v_readlane_b32 s82, v3, 4                                  // 0000000049E4: D2890052 00010903
	s_lshr_b32 s61, s82, 24                                    // 0000000049EC: 8F3D9852
	s_and_b32 s82, s82, 0xffffff                               // 0000000049F0: 8652FF52 00FFFFFF
	s_mul_i32 s82, s82, s71                                    // 0000000049F8: 92524752
	s_mul_i32 s61, s60, s61                                    // 0000000049FC: 923D3D3C
	s_add_u32 s82, s82, s61                                    // 000000004A00: 80523D52
	v_mul_lo_u32 v6, v5, s82                                   // 000000004A04: D2850006 0000A505
	v_readlane_b32 s82, v3, 5                                  // 000000004A0C: D2890052 00010B03
	s_lshr_b32 s61, s82, 24                                    // 000000004A14: 8F3D9852
	s_and_b32 s82, s82, 0xffffff                               // 000000004A18: 8652FF52 00FFFFFF
	s_mul_i32 s82, s82, s71                                    // 000000004A20: 92524752
	s_mul_i32 s61, s60, s61                                    // 000000004A24: 923D3D3C
	s_add_u32 s82, s82, s61                                    // 000000004A28: 80523D52
	v_mul_lo_u32 v7, v4, s82                                   // 000000004A2C: D2850007 0000A504
	v_add_u32_e32 v38, v6, v7                                  // 000000004A34: 684C0F06
	v_readlane_b32 s82, v3, 6                                  // 000000004A38: D2890052 00010D03
	s_lshr_b32 s61, s82, 24                                    // 000000004A40: 8F3D9852
	s_and_b32 s82, s82, 0xffffff                               // 000000004A44: 8652FF52 00FFFFFF
	s_mul_i32 s82, s82, s71                                    // 000000004A4C: 92524752
	s_mul_i32 s61, s60, s61                                    // 000000004A50: 923D3D3C
	s_add_u32 s82, s82, s61                                    // 000000004A54: 80523D52
	v_mul_lo_u32 v6, v5, s82                                   // 000000004A58: D2850006 0000A505
	v_readlane_b32 s82, v3, 7                                  // 000000004A60: D2890052 00010F03
	s_lshr_b32 s61, s82, 24                                    // 000000004A68: 8F3D9852
	s_and_b32 s82, s82, 0xffffff                               // 000000004A6C: 8652FF52 00FFFFFF
	s_mul_i32 s82, s82, s71                                    // 000000004A74: 92524752
	s_mul_i32 s61, s60, s61                                    // 000000004A78: 923D3D3C
	s_add_u32 s82, s82, s61                                    // 000000004A7C: 80523D52
	v_mul_lo_u32 v7, v4, s82                                   // 000000004A80: D2850007 0000A504
	v_add_u32_e32 v39, v6, v7                                  // 000000004A88: 684E0F06
	v_and_b32_e32 v4, 31, v0                                   // 000000004A8C: 2608009F
	v_lshrrev_b32_e32 v4, 1, v4                                // 000000004A90: 20080881
	s_cmp_eq_u32 s88, 0                                        // 000000004A94: BF068058
	s_cselect_b32 s61, 2, 4                                    // 000000004A98: 853D8482
	v_mul_lo_u32 v4, v4, s61                                   // 000000004A9C: D2850004 00007B04
	v_and_b32_e64 v5, v0, 1                                    // 000000004AA4: D1130005 00010300
	v_add_u32_e32 v4, v4, v5                                   // 000000004AAC: 68080B04
	v_lshlrev_b32_e32 v4, 2, v4                                // 000000004AB0: 24080882
	v_add_u32_e32 v36, v36, v4                                 // 000000004AB4: 68480924
	v_add_u32_e32 v37, v37, v4                                 // 000000004AB8: 684A0925
	v_add_u32_e32 v38, v38, v4                                 // 000000004ABC: 684C0926
	v_add_u32_e32 v39, v39, v4                                 // 000000004AC0: 684E0927
	s_waitcnt lgkmcnt(0)                                       // 000000004AC4: BF8CC07F
	s_barrier                                                  // 000000004AC8: BF8A0000
	ds_read_b32 v44, v21                                       // 000000004ACC: D86C0000 2C000015
	ds_read_b32 v45, v21 offset:64                             // 000000004AD4: D86C0040 2D000015
	ds_read_b32 v46, v21 offset:2176                           // 000000004ADC: D86C0880 2E000015
	ds_read_b32 v47, v21 offset:2240                           // 000000004AE4: D86C08C0 2F000015
	s_waitcnt lgkmcnt(0)                                       // 000000004AEC: BF8CC07F
	s_mov_b32 s36, -1                                          // 000000004AF0: BEA400C1
	s_mov_b32 s37, -1                                          // 000000004AF4: BEA500C1
	v_mov_b32_e32 v7, 0                                        // 000000004AF8: 7E0E0280
	s_or_b32 s9, s9, 0x40000                                   // 000000004AFC: 8709FF09 00040000
	s_mov_b64 exec, s[36:37]                                   // 000000004B04: BEFE0124
	v_mov_b32_e32 v6, v36                                      // 000000004B08: 7E0C0324
	s_mov_b64 s[60:61], 0                                      // 000000004B0C: BEBC0180
	v_readlane_b32 s82, v3, 0                                  // 000000004B10: D2890052 00010103
	s_and_b32 s82, s82, 0xffffff                               // 000000004B18: 8652FF52 00FFFFFF
	s_cmp_lt_u32 s82, s66                                      // 000000004B20: BF0A4252
	s_cselect_b32 s20, s36, s60                                // 000000004B24: 85143C24
	v_readlane_b32 s82, v3, 1                                  // 000000004B28: D2890052 00010303
	s_and_b32 s82, s82, 0xffffff                               // 000000004B30: 8652FF52 00FFFFFF
	s_cmp_lt_u32 s82, s66                                      // 000000004B38: BF0A4252
	s_cselect_b32 s21, s36, s60                                // 000000004B3C: 85153C24
	s_mov_b64 exec, s[20:21]                                   // 000000004B40: BEFE0114
	buffer_store_dword v44, v6, s[8:11], 0 offen               // 000000004B44: E0701000 80022C06
	s_mov_b64 exec, s[36:37]                                   // 000000004B4C: BEFE0124
	v_mov_b32_e32 v6, v37                                      // 000000004B50: 7E0C0325
	s_mov_b64 s[60:61], 0                                      // 000000004B54: BEBC0180
	v_readlane_b32 s82, v3, 2                                  // 000000004B58: D2890052 00010503
	s_and_b32 s82, s82, 0xffffff                               // 000000004B60: 8652FF52 00FFFFFF
	s_cmp_lt_u32 s82, s66                                      // 000000004B68: BF0A4252
	s_cselect_b32 s20, s36, s60                                // 000000004B6C: 85143C24
	v_readlane_b32 s82, v3, 3                                  // 000000004B70: D2890052 00010703
	s_and_b32 s82, s82, 0xffffff                               // 000000004B78: 8652FF52 00FFFFFF
	s_cmp_lt_u32 s82, s66                                      // 000000004B80: BF0A4252
	s_cselect_b32 s21, s36, s60                                // 000000004B84: 85153C24
	s_mov_b64 exec, s[20:21]                                   // 000000004B88: BEFE0114
	buffer_store_dword v45, v6, s[8:11], 0 offen               // 000000004B8C: E0701000 80022D06
	s_mov_b64 exec, s[36:37]                                   // 000000004B94: BEFE0124
	v_mov_b32_e32 v6, v38                                      // 000000004B98: 7E0C0326
	s_mov_b64 s[60:61], 0                                      // 000000004B9C: BEBC0180
	v_readlane_b32 s82, v3, 4                                  // 000000004BA0: D2890052 00010903
	s_and_b32 s82, s82, 0xffffff                               // 000000004BA8: 8652FF52 00FFFFFF
	s_cmp_lt_u32 s82, s66                                      // 000000004BB0: BF0A4252
	s_cselect_b32 s20, s36, s60                                // 000000004BB4: 85143C24
	v_readlane_b32 s82, v3, 5                                  // 000000004BB8: D2890052 00010B03
	s_and_b32 s82, s82, 0xffffff                               // 000000004BC0: 8652FF52 00FFFFFF
	s_cmp_lt_u32 s82, s66                                      // 000000004BC8: BF0A4252
	s_cselect_b32 s21, s36, s60                                // 000000004BCC: 85153C24
	s_mov_b64 exec, s[20:21]                                   // 000000004BD0: BEFE0114
	buffer_store_dword v46, v6, s[8:11], 0 offen               // 000000004BD4: E0701000 80022E06
	s_mov_b64 exec, s[36:37]                                   // 000000004BDC: BEFE0124
	v_mov_b32_e32 v6, v39                                      // 000000004BE0: 7E0C0327
	s_mov_b64 s[60:61], 0                                      // 000000004BE4: BEBC0180
	v_readlane_b32 s82, v3, 6                                  // 000000004BE8: D2890052 00010D03
	s_and_b32 s82, s82, 0xffffff                               // 000000004BF0: 8652FF52 00FFFFFF
	s_cmp_lt_u32 s82, s66                                      // 000000004BF8: BF0A4252
	s_cselect_b32 s20, s36, s60                                // 000000004BFC: 85143C24
	v_readlane_b32 s82, v3, 7                                  // 000000004C00: D2890052 00010F03
	s_and_b32 s82, s82, 0xffffff                               // 000000004C08: 8652FF52 00FFFFFF
	s_cmp_lt_u32 s82, s66                                      // 000000004C10: BF0A4252
	s_cselect_b32 s21, s36, s60                                // 000000004C14: 85153C24
	s_mov_b64 exec, s[20:21]                                   // 000000004C18: BEFE0114
	buffer_store_dword v47, v6, s[8:11], 0 offen               // 000000004C1C: E0701000 80022F06
	s_mov_b64 exec, s[36:37]                                   // 000000004C24: BEFE0124
	s_branch label_0A60                                        // 000000004C28: BF8201D2

0000000000004c2c <label_088E>:
	ds_write_b64 v20, v[44:45]                                 // 000000004C2C: D89A0000 00002C14
	ds_write_b64 v20, v[48:49] offset:2176                     // 000000004C34: D89A0880 00003014
	v_lshrrev_b32_e32 v4, 5, v0                                // 000000004C3C: 20080085
	v_xor_b32_e32 v5, 1, v4                                    // 000000004C40: 2A0A0881
	s_mul_i32 s60, s65, 2                                      // 000000004C44: 923C8241
	s_cmp_eq_u32 s88, 0                                        // 000000004C48: BF068058
	s_cselect_b32 s61, 1, 4                                    // 000000004C4C: 853D8481
	s_mul_i32 s60, s61, s60                                    // 000000004C50: 923C3C3D
	v_readlane_b32 s82, v3, 0                                  // 000000004C54: D2890052 00010103
	s_lshr_b32 s61, s82, 24                                    // 000000004C5C: 8F3D9852
	s_and_b32 s82, s82, 0xffffff                               // 000000004C60: 8652FF52 00FFFFFF
	s_mul_i32 s82, s82, s71                                    // 000000004C68: 92524752
	s_mul_i32 s61, s60, s61                                    // 000000004C6C: 923D3D3C
	s_add_u32 s82, s82, s61                                    // 000000004C70: 80523D52
	v_mul_lo_u32 v6, v5, s82                                   // 000000004C74: D2850006 0000A505
	v_readlane_b32 s82, v3, 1                                  // 000000004C7C: D2890052 00010303
	s_lshr_b32 s61, s82, 24                                    // 000000004C84: 8F3D9852
	s_and_b32 s82, s82, 0xffffff                               // 000000004C88: 8652FF52 00FFFFFF
	s_mul_i32 s82, s82, s71                                    // 000000004C90: 92524752
	s_mul_i32 s61, s60, s61                                    // 000000004C94: 923D3D3C
	s_add_u32 s82, s82, s61                                    // 000000004C98: 80523D52
	v_mul_lo_u32 v7, v4, s82                                   // 000000004C9C: D2850007 0000A504
	v_add_u32_e32 v36, v6, v7                                  // 000000004CA4: 68480F06
	v_readlane_b32 s82, v3, 2                                  // 000000004CA8: D2890052 00010503
	s_lshr_b32 s61, s82, 24                                    // 000000004CB0: 8F3D9852
	s_and_b32 s82, s82, 0xffffff                               // 000000004CB4: 8652FF52 00FFFFFF
	s_mul_i32 s82, s82, s71                                    // 000000004CBC: 92524752
	s_mul_i32 s61, s60, s61                                    // 000000004CC0: 923D3D3C
	s_add_u32 s82, s82, s61                                    // 000000004CC4: 80523D52
	v_mul_lo_u32 v6, v5, s82                                   // 000000004CC8: D2850006 0000A505
	v_readlane_b32 s82, v3, 3                                  // 000000004CD0: D2890052 00010703
	s_lshr_b32 s61, s82, 24                                    // 000000004CD8: 8F3D9852
	s_and_b32 s82, s82, 0xffffff                               // 000000004CDC: 8652FF52 00FFFFFF
	s_mul_i32 s82, s82, s71                                    // 000000004CE4: 92524752
	s_mul_i32 s61, s60, s61                                    // 000000004CE8: 923D3D3C
	s_add_u32 s82, s82, s61                                    // 000000004CEC: 80523D52
	v_mul_lo_u32 v7, v4, s82                                   // 000000004CF0: D2850007 0000A504
	v_add_u32_e32 v37, v6, v7                                  // 000000004CF8: 684A0F06
	v_readlane_b32 s82, v3, 4                                  // 000000004CFC: D2890052 00010903
	s_lshr_b32 s61, s82, 24                                    // 000000004D04: 8F3D9852
	s_and_b32 s82, s82, 0xffffff                               // 000000004D08: 8652FF52 00FFFFFF
	s_mul_i32 s82, s82, s71                                    // 000000004D10: 92524752
	s_mul_i32 s61, s60, s61                                    // 000000004D14: 923D3D3C
	s_add_u32 s82, s82, s61                                    // 000000004D18: 80523D52
	v_mul_lo_u32 v6, v5, s82                                   // 000000004D1C: D2850006 0000A505
	v_readlane_b32 s82, v3, 5                                  // 000000004D24: D2890052 00010B03
	s_lshr_b32 s61, s82, 24                                    // 000000004D2C: 8F3D9852
	s_and_b32 s82, s82, 0xffffff                               // 000000004D30: 8652FF52 00FFFFFF
	s_mul_i32 s82, s82, s71                                    // 000000004D38: 92524752
	s_mul_i32 s61, s60, s61                                    // 000000004D3C: 923D3D3C
	s_add_u32 s82, s82, s61                                    // 000000004D40: 80523D52
	v_mul_lo_u32 v7, v4, s82                                   // 000000004D44: D2850007 0000A504
	v_add_u32_e32 v38, v6, v7                                  // 000000004D4C: 684C0F06
	v_readlane_b32 s82, v3, 6                                  // 000000004D50: D2890052 00010D03
	s_lshr_b32 s61, s82, 24                                    // 000000004D58: 8F3D9852
	s_and_b32 s82, s82, 0xffffff                               // 000000004D5C: 8652FF52 00FFFFFF
	s_mul_i32 s82, s82, s71                                    // 000000004D64: 92524752
	s_mul_i32 s61, s60, s61                                    // 000000004D68: 923D3D3C
	s_add_u32 s82, s82, s61                                    // 000000004D6C: 80523D52
	v_mul_lo_u32 v6, v5, s82                                   // 000000004D70: D2850006 0000A505
	v_readlane_b32 s82, v3, 7                                  // 000000004D78: D2890052 00010F03
	s_lshr_b32 s61, s82, 24                                    // 000000004D80: 8F3D9852
	s_and_b32 s82, s82, 0xffffff                               // 000000004D84: 8652FF52 00FFFFFF
	s_mul_i32 s82, s82, s71                                    // 000000004D8C: 92524752
	s_mul_i32 s61, s60, s61                                    // 000000004D90: 923D3D3C
	s_add_u32 s82, s82, s61                                    // 000000004D94: 80523D52
	v_mul_lo_u32 v7, v4, s82                                   // 000000004D98: D2850007 0000A504
	v_add_u32_e32 v39, v6, v7                                  // 000000004DA0: 684E0F06
	v_and_b32_e32 v4, 31, v0                                   // 000000004DA4: 2608009F
	v_lshrrev_b32_e32 v4, 1, v4                                // 000000004DA8: 20080881
	s_cmp_eq_u32 s88, 0                                        // 000000004DAC: BF068058
	s_cselect_b32 s61, 2, 4                                    // 000000004DB0: 853D8482
	v_mul_lo_u32 v4, v4, s61                                   // 000000004DB4: D2850004 00007B04
	v_and_b32_e64 v5, v0, 1                                    // 000000004DBC: D1130005 00010300
	v_add_u32_e32 v4, v4, v5                                   // 000000004DC4: 68080B04
	v_lshlrev_b32_e32 v4, 2, v4                                // 000000004DC8: 24080882
	v_add_u32_e32 v36, v36, v4                                 // 000000004DCC: 68480924
	v_add_u32_e32 v37, v37, v4                                 // 000000004DD0: 684A0925
	v_add_u32_e32 v38, v38, v4                                 // 000000004DD4: 684C0926
	v_add_u32_e32 v39, v39, v4                                 // 000000004DD8: 684E0927
	s_waitcnt lgkmcnt(0)                                       // 000000004DDC: BF8CC07F
	s_barrier                                                  // 000000004DE0: BF8A0000
	ds_read_b32 v44, v21                                       // 000000004DE4: D86C0000 2C000015
	ds_read_b32 v45, v21 offset:64                             // 000000004DEC: D86C0040 2D000015
	ds_read_b32 v48, v21 offset:2176                           // 000000004DF4: D86C0880 30000015
	ds_read_b32 v49, v21 offset:2240                           // 000000004DFC: D86C08C0 31000015
	s_waitcnt lgkmcnt(0)                                       // 000000004E04: BF8CC07F
	s_mov_b32 s36, -1                                          // 000000004E08: BEA400C1
	s_mov_b32 s37, -1                                          // 000000004E0C: BEA500C1
	v_mov_b32_e32 v7, 0                                        // 000000004E10: 7E0E0280
	s_mov_b64 exec, s[36:37]                                   // 000000004E14: BEFE0124
	v_mov_b32_e32 v6, v36                                      // 000000004E18: 7E0C0324
	s_mov_b64 s[60:61], 0                                      // 000000004E1C: BEBC0180
	v_readlane_b32 s82, v3, 0                                  // 000000004E20: D2890052 00010103
	s_and_b32 s82, s82, 0xffffff                               // 000000004E28: 8652FF52 00FFFFFF
	s_cmp_lt_u32 s82, s66                                      // 000000004E30: BF0A4252
	s_cselect_b32 s20, s36, s60                                // 000000004E34: 85143C24
	v_readlane_b32 s82, v3, 1                                  // 000000004E38: D2890052 00010303
	s_and_b32 s82, s82, 0xffffff                               // 000000004E40: 8652FF52 00FFFFFF
	s_cmp_lt_u32 s82, s66                                      // 000000004E48: BF0A4252
	s_cselect_b32 s21, s36, s60                                // 000000004E4C: 85153C24
	s_mov_b64 exec, s[20:21]                                   // 000000004E50: BEFE0114
	global_atomic_add_f32 v6, v44, s[8:9]                      // 000000004E54: DD348000 00082C06
	s_mov_b64 exec, s[36:37]                                   // 000000004E5C: BEFE0124
	v_mov_b32_e32 v6, v37                                      // 000000004E60: 7E0C0325
	s_mov_b64 s[60:61], 0                                      // 000000004E64: BEBC0180
	v_readlane_b32 s82, v3, 2                                  // 000000004E68: D2890052 00010503
	s_and_b32 s82, s82, 0xffffff                               // 000000004E70: 8652FF52 00FFFFFF
	s_cmp_lt_u32 s82, s66                                      // 000000004E78: BF0A4252
	s_cselect_b32 s20, s36, s60                                // 000000004E7C: 85143C24
	v_readlane_b32 s82, v3, 3                                  // 000000004E80: D2890052 00010703
	s_and_b32 s82, s82, 0xffffff                               // 000000004E88: 8652FF52 00FFFFFF
	s_cmp_lt_u32 s82, s66                                      // 000000004E90: BF0A4252
	s_cselect_b32 s21, s36, s60                                // 000000004E94: 85153C24
	s_mov_b64 exec, s[20:21]                                   // 000000004E98: BEFE0114
	global_atomic_add_f32 v6, v45, s[8:9]                      // 000000004E9C: DD348000 00082D06
	s_mov_b64 exec, s[36:37]                                   // 000000004EA4: BEFE0124
	v_mov_b32_e32 v6, v38                                      // 000000004EA8: 7E0C0326
	s_mov_b64 s[60:61], 0                                      // 000000004EAC: BEBC0180
	v_readlane_b32 s82, v3, 4                                  // 000000004EB0: D2890052 00010903
	s_and_b32 s82, s82, 0xffffff                               // 000000004EB8: 8652FF52 00FFFFFF
	s_cmp_lt_u32 s82, s66                                      // 000000004EC0: BF0A4252
	s_cselect_b32 s20, s36, s60                                // 000000004EC4: 85143C24
	v_readlane_b32 s82, v3, 5                                  // 000000004EC8: D2890052 00010B03
	s_and_b32 s82, s82, 0xffffff                               // 000000004ED0: 8652FF52 00FFFFFF
	s_cmp_lt_u32 s82, s66                                      // 000000004ED8: BF0A4252
	s_cselect_b32 s21, s36, s60                                // 000000004EDC: 85153C24
	s_mov_b64 exec, s[20:21]                                   // 000000004EE0: BEFE0114
	global_atomic_add_f32 v6, v48, s[8:9]                      // 000000004EE4: DD348000 00083006
	s_mov_b64 exec, s[36:37]                                   // 000000004EEC: BEFE0124
	v_mov_b32_e32 v6, v39                                      // 000000004EF0: 7E0C0327
	s_mov_b64 s[60:61], 0                                      // 000000004EF4: BEBC0180
	v_readlane_b32 s82, v3, 6                                  // 000000004EF8: D2890052 00010D03
	s_and_b32 s82, s82, 0xffffff                               // 000000004F00: 8652FF52 00FFFFFF
	s_cmp_lt_u32 s82, s66                                      // 000000004F08: BF0A4252
	s_cselect_b32 s20, s36, s60                                // 000000004F0C: 85143C24
	v_readlane_b32 s82, v3, 7                                  // 000000004F10: D2890052 00010F03
	s_and_b32 s82, s82, 0xffffff                               // 000000004F18: 8652FF52 00FFFFFF
	s_cmp_lt_u32 s82, s66                                      // 000000004F20: BF0A4252
	s_cselect_b32 s21, s36, s60                                // 000000004F24: 85153C24
	s_mov_b64 exec, s[20:21]                                   // 000000004F28: BEFE0114
	global_atomic_add_f32 v6, v49, s[8:9]                      // 000000004F2C: DD348000 00083106
	s_mov_b64 exec, s[36:37]                                   // 000000004F34: BEFE0124
	ds_write_b64 v20, v[46:47]                                 // 000000004F38: D89A0000 00002E14
	ds_write_b64 v20, v[50:51] offset:2176                     // 000000004F40: D89A0880 00003214
	s_waitcnt lgkmcnt(0)                                       // 000000004F48: BF8CC07F
	s_barrier                                                  // 000000004F4C: BF8A0000
	ds_read_b32 v46, v21                                       // 000000004F50: D86C0000 2E000015
	ds_read_b32 v47, v21 offset:64                             // 000000004F58: D86C0040 2F000015
	ds_read_b32 v50, v21 offset:2176                           // 000000004F60: D86C0880 32000015
	ds_read_b32 v51, v21 offset:2240                           // 000000004F68: D86C08C0 33000015
	s_waitcnt lgkmcnt(0)                                       // 000000004F70: BF8CC07F
	v_mov_b32_e32 v7, 0                                        // 000000004F74: 7E0E0280
	s_mov_b64 exec, s[36:37]                                   // 000000004F78: BEFE0124
	v_mov_b32_e32 v6, v36                                      // 000000004F7C: 7E0C0324
	s_mov_b64 s[60:61], 0                                      // 000000004F80: BEBC0180
	v_readlane_b32 s82, v3, 0                                  // 000000004F84: D2890052 00010103
	s_and_b32 s82, s82, 0xffffff                               // 000000004F8C: 8652FF52 00FFFFFF
	s_cmp_lt_u32 s82, s66                                      // 000000004F94: BF0A4252
	s_cselect_b32 s20, s36, s60                                // 000000004F98: 85143C24
	v_readlane_b32 s82, v3, 1                                  // 000000004F9C: D2890052 00010303
	s_and_b32 s82, s82, 0xffffff                               // 000000004FA4: 8652FF52 00FFFFFF
	s_cmp_lt_u32 s82, s66                                      // 000000004FAC: BF0A4252
	s_cselect_b32 s21, s36, s60                                // 000000004FB0: 85153C24
	s_mov_b64 exec, s[20:21]                                   // 000000004FB4: BEFE0114
	global_atomic_add_f32 v6, v46, s[8:9] offset:8             // 000000004FB8: DD348008 00082E06
	s_mov_b64 exec, s[36:37]                                   // 000000004FC0: BEFE0124
	v_mov_b32_e32 v6, v37                                      // 000000004FC4: 7E0C0325
	s_mov_b64 s[60:61], 0                                      // 000000004FC8: BEBC0180
	v_readlane_b32 s82, v3, 2                                  // 000000004FCC: D2890052 00010503
	s_and_b32 s82, s82, 0xffffff                               // 000000004FD4: 8652FF52 00FFFFFF
	s_cmp_lt_u32 s82, s66                                      // 000000004FDC: BF0A4252
	s_cselect_b32 s20, s36, s60                                // 000000004FE0: 85143C24
	v_readlane_b32 s82, v3, 3                                  // 000000004FE4: D2890052 00010703
	s_and_b32 s82, s82, 0xffffff                               // 000000004FEC: 8652FF52 00FFFFFF
	s_cmp_lt_u32 s82, s66                                      // 000000004FF4: BF0A4252
	s_cselect_b32 s21, s36, s60                                // 000000004FF8: 85153C24
	s_mov_b64 exec, s[20:21]                                   // 000000004FFC: BEFE0114
	global_atomic_add_f32 v6, v47, s[8:9] offset:8             // 000000005000: DD348008 00082F06
	s_mov_b64 exec, s[36:37]                                   // 000000005008: BEFE0124
	v_mov_b32_e32 v6, v38                                      // 00000000500C: 7E0C0326
	s_mov_b64 s[60:61], 0                                      // 000000005010: BEBC0180
	v_readlane_b32 s82, v3, 4                                  // 000000005014: D2890052 00010903
	s_and_b32 s82, s82, 0xffffff                               // 00000000501C: 8652FF52 00FFFFFF
	s_cmp_lt_u32 s82, s66                                      // 000000005024: BF0A4252
	s_cselect_b32 s20, s36, s60                                // 000000005028: 85143C24
	v_readlane_b32 s82, v3, 5                                  // 00000000502C: D2890052 00010B03
	s_and_b32 s82, s82, 0xffffff                               // 000000005034: 8652FF52 00FFFFFF
	s_cmp_lt_u32 s82, s66                                      // 00000000503C: BF0A4252
	s_cselect_b32 s21, s36, s60                                // 000000005040: 85153C24
	s_mov_b64 exec, s[20:21]                                   // 000000005044: BEFE0114
	global_atomic_add_f32 v6, v50, s[8:9] offset:8             // 000000005048: DD348008 00083206
	s_mov_b64 exec, s[36:37]                                   // 000000005050: BEFE0124
	v_mov_b32_e32 v6, v39                                      // 000000005054: 7E0C0327
	s_mov_b64 s[60:61], 0                                      // 000000005058: BEBC0180
	v_readlane_b32 s82, v3, 6                                  // 00000000505C: D2890052 00010D03
	s_and_b32 s82, s82, 0xffffff                               // 000000005064: 8652FF52 00FFFFFF
	s_cmp_lt_u32 s82, s66                                      // 00000000506C: BF0A4252
	s_cselect_b32 s20, s36, s60                                // 000000005070: 85143C24
	v_readlane_b32 s82, v3, 7                                  // 000000005074: D2890052 00010F03
	s_and_b32 s82, s82, 0xffffff                               // 00000000507C: 8652FF52 00FFFFFF
	s_cmp_lt_u32 s82, s66                                      // 000000005084: BF0A4252
	s_cselect_b32 s21, s36, s60                                // 000000005088: 85153C24
	s_mov_b64 exec, s[20:21]                                   // 00000000508C: BEFE0114
	global_atomic_add_f32 v6, v51, s[8:9] offset:8             // 000000005090: DD348008 00083306
	s_mov_b64 exec, s[36:37]                                   // 000000005098: BEFE0124
	ds_write_b64 v20, v[52:53]                                 // 00000000509C: D89A0000 00003414
	ds_write_b64 v20, v[56:57] offset:2176                     // 0000000050A4: D89A0880 00003814
	s_waitcnt lgkmcnt(0)                                       // 0000000050AC: BF8CC07F
	s_barrier                                                  // 0000000050B0: BF8A0000
	ds_read_b32 v52, v21                                       // 0000000050B4: D86C0000 34000015
	ds_read_b32 v53, v21 offset:64                             // 0000000050BC: D86C0040 35000015
	ds_read_b32 v56, v21 offset:2176                           // 0000000050C4: D86C0880 38000015
	ds_read_b32 v57, v21 offset:2240                           // 0000000050CC: D86C08C0 39000015
	s_mul_i32 s60, s65, 4                                      // 0000000050D4: 923C8441
	s_add_u32 s8, s60, s8                                      // 0000000050D8: 8008083C
	s_addc_u32 s9, 0, s9                                       // 0000000050DC: 82090980
	s_waitcnt lgkmcnt(0)                                       // 0000000050E0: BF8CC07F
	v_mov_b32_e32 v7, 0                                        // 0000000050E4: 7E0E0280
	s_mov_b64 exec, s[36:37]                                   // 0000000050E8: BEFE0124
	v_mov_b32_e32 v6, v36                                      // 0000000050EC: 7E0C0324
	s_mov_b64 s[60:61], 0                                      // 0000000050F0: BEBC0180
	v_readlane_b32 s82, v3, 0                                  // 0000000050F4: D2890052 00010103
	s_and_b32 s82, s82, 0xffffff                               // 0000000050FC: 8652FF52 00FFFFFF
	s_cmp_lt_u32 s82, s66                                      // 000000005104: BF0A4252
	s_cselect_b32 s20, s36, s60                                // 000000005108: 85143C24
	v_readlane_b32 s82, v3, 1                                  // 00000000510C: D2890052 00010303
	s_and_b32 s82, s82, 0xffffff                               // 000000005114: 8652FF52 00FFFFFF
	s_cmp_lt_u32 s82, s66                                      // 00000000511C: BF0A4252
	s_cselect_b32 s21, s36, s60                                // 000000005120: 85153C24
	s_mov_b64 exec, s[20:21]                                   // 000000005124: BEFE0114
	global_atomic_add_f32 v6, v52, s[8:9]                      // 000000005128: DD348000 00083406
	s_mov_b64 exec, s[36:37]                                   // 000000005130: BEFE0124
	v_mov_b32_e32 v6, v37                                      // 000000005134: 7E0C0325
	s_mov_b64 s[60:61], 0                                      // 000000005138: BEBC0180
	v_readlane_b32 s82, v3, 2                                  // 00000000513C: D2890052 00010503
	s_and_b32 s82, s82, 0xffffff                               // 000000005144: 8652FF52 00FFFFFF
	s_cmp_lt_u32 s82, s66                                      // 00000000514C: BF0A4252
	s_cselect_b32 s20, s36, s60                                // 000000005150: 85143C24
	v_readlane_b32 s82, v3, 3                                  // 000000005154: D2890052 00010703
	s_and_b32 s82, s82, 0xffffff                               // 00000000515C: 8652FF52 00FFFFFF
	s_cmp_lt_u32 s82, s66                                      // 000000005164: BF0A4252
	s_cselect_b32 s21, s36, s60                                // 000000005168: 85153C24
	s_mov_b64 exec, s[20:21]                                   // 00000000516C: BEFE0114
	global_atomic_add_f32 v6, v53, s[8:9]                      // 000000005170: DD348000 00083506
	s_mov_b64 exec, s[36:37]                                   // 000000005178: BEFE0124
	v_mov_b32_e32 v6, v38                                      // 00000000517C: 7E0C0326
	s_mov_b64 s[60:61], 0                                      // 000000005180: BEBC0180
	v_readlane_b32 s82, v3, 4                                  // 000000005184: D2890052 00010903
	s_and_b32 s82, s82, 0xffffff                               // 00000000518C: 8652FF52 00FFFFFF
	s_cmp_lt_u32 s82, s66                                      // 000000005194: BF0A4252
	s_cselect_b32 s20, s36, s60                                // 000000005198: 85143C24
	v_readlane_b32 s82, v3, 5                                  // 00000000519C: D2890052 00010B03
	s_and_b32 s82, s82, 0xffffff                               // 0000000051A4: 8652FF52 00FFFFFF
	s_cmp_lt_u32 s82, s66                                      // 0000000051AC: BF0A4252
	s_cselect_b32 s21, s36, s60                                // 0000000051B0: 85153C24
	s_mov_b64 exec, s[20:21]                                   // 0000000051B4: BEFE0114
	global_atomic_add_f32 v6, v56, s[8:9]                      // 0000000051B8: DD348000 00083806
	s_mov_b64 exec, s[36:37]                                   // 0000000051C0: BEFE0124
	v_mov_b32_e32 v6, v39                                      // 0000000051C4: 7E0C0327
	s_mov_b64 s[60:61], 0                                      // 0000000051C8: BEBC0180
	v_readlane_b32 s82, v3, 6                                  // 0000000051CC: D2890052 00010D03
	s_and_b32 s82, s82, 0xffffff                               // 0000000051D4: 8652FF52 00FFFFFF
	s_cmp_lt_u32 s82, s66                                      // 0000000051DC: BF0A4252
	s_cselect_b32 s20, s36, s60                                // 0000000051E0: 85143C24
	v_readlane_b32 s82, v3, 7                                  // 0000000051E4: D2890052 00010F03
	s_and_b32 s82, s82, 0xffffff                               // 0000000051EC: 8652FF52 00FFFFFF
	s_cmp_lt_u32 s82, s66                                      // 0000000051F4: BF0A4252
	s_cselect_b32 s21, s36, s60                                // 0000000051F8: 85153C24
	s_mov_b64 exec, s[20:21]                                   // 0000000051FC: BEFE0114
	global_atomic_add_f32 v6, v57, s[8:9]                      // 000000005200: DD348000 00083906
	s_mov_b64 exec, s[36:37]                                   // 000000005208: BEFE0124
	ds_write_b64 v20, v[54:55]                                 // 00000000520C: D89A0000 00003614
	ds_write_b64 v20, v[58:59] offset:2176                     // 000000005214: D89A0880 00003A14
	s_waitcnt lgkmcnt(0)                                       // 00000000521C: BF8CC07F
	s_barrier                                                  // 000000005220: BF8A0000
	ds_read_b32 v54, v21                                       // 000000005224: D86C0000 36000015
	ds_read_b32 v55, v21 offset:64                             // 00000000522C: D86C0040 37000015
	ds_read_b32 v58, v21 offset:2176                           // 000000005234: D86C0880 3A000015
	ds_read_b32 v59, v21 offset:2240                           // 00000000523C: D86C08C0 3B000015
	s_waitcnt lgkmcnt(0)                                       // 000000005244: BF8CC07F
	v_mov_b32_e32 v7, 0                                        // 000000005248: 7E0E0280
	s_mov_b64 exec, s[36:37]                                   // 00000000524C: BEFE0124
	v_mov_b32_e32 v6, v36                                      // 000000005250: 7E0C0324
	s_mov_b64 s[60:61], 0                                      // 000000005254: BEBC0180
	v_readlane_b32 s82, v3, 0                                  // 000000005258: D2890052 00010103
	s_and_b32 s82, s82, 0xffffff                               // 000000005260: 8652FF52 00FFFFFF
	s_cmp_lt_u32 s82, s66                                      // 000000005268: BF0A4252
	s_cselect_b32 s20, s36, s60                                // 00000000526C: 85143C24
	v_readlane_b32 s82, v3, 1                                  // 000000005270: D2890052 00010303
	s_and_b32 s82, s82, 0xffffff                               // 000000005278: 8652FF52 00FFFFFF
	s_cmp_lt_u32 s82, s66                                      // 000000005280: BF0A4252
	s_cselect_b32 s21, s36, s60                                // 000000005284: 85153C24
	s_mov_b64 exec, s[20:21]                                   // 000000005288: BEFE0114
	global_atomic_add_f32 v6, v54, s[8:9] offset:8             // 00000000528C: DD348008 00083606
	s_mov_b64 exec, s[36:37]                                   // 000000005294: BEFE0124
	v_mov_b32_e32 v6, v37                                      // 000000005298: 7E0C0325
	s_mov_b64 s[60:61], 0                                      // 00000000529C: BEBC0180
	v_readlane_b32 s82, v3, 2                                  // 0000000052A0: D2890052 00010503
	s_and_b32 s82, s82, 0xffffff                               // 0000000052A8: 8652FF52 00FFFFFF
	s_cmp_lt_u32 s82, s66                                      // 0000000052B0: BF0A4252
	s_cselect_b32 s20, s36, s60                                // 0000000052B4: 85143C24
	v_readlane_b32 s82, v3, 3                                  // 0000000052B8: D2890052 00010703
	s_and_b32 s82, s82, 0xffffff                               // 0000000052C0: 8652FF52 00FFFFFF
	s_cmp_lt_u32 s82, s66                                      // 0000000052C8: BF0A4252
	s_cselect_b32 s21, s36, s60                                // 0000000052CC: 85153C24
	s_mov_b64 exec, s[20:21]                                   // 0000000052D0: BEFE0114
	global_atomic_add_f32 v6, v55, s[8:9] offset:8             // 0000000052D4: DD348008 00083706
	s_mov_b64 exec, s[36:37]                                   // 0000000052DC: BEFE0124
	v_mov_b32_e32 v6, v38                                      // 0000000052E0: 7E0C0326
	s_mov_b64 s[60:61], 0                                      // 0000000052E4: BEBC0180
	v_readlane_b32 s82, v3, 4                                  // 0000000052E8: D2890052 00010903
	s_and_b32 s82, s82, 0xffffff                               // 0000000052F0: 8652FF52 00FFFFFF
	s_cmp_lt_u32 s82, s66                                      // 0000000052F8: BF0A4252
	s_cselect_b32 s20, s36, s60                                // 0000000052FC: 85143C24
	v_readlane_b32 s82, v3, 5                                  // 000000005300: D2890052 00010B03
	s_and_b32 s82, s82, 0xffffff                               // 000000005308: 8652FF52 00FFFFFF
	s_cmp_lt_u32 s82, s66                                      // 000000005310: BF0A4252
	s_cselect_b32 s21, s36, s60                                // 000000005314: 85153C24
	s_mov_b64 exec, s[20:21]                                   // 000000005318: BEFE0114
	global_atomic_add_f32 v6, v58, s[8:9] offset:8             // 00000000531C: DD348008 00083A06
	s_mov_b64 exec, s[36:37]                                   // 000000005324: BEFE0124
	v_mov_b32_e32 v6, v39                                      // 000000005328: 7E0C0327
	s_mov_b64 s[60:61], 0                                      // 00000000532C: BEBC0180
	v_readlane_b32 s82, v3, 6                                  // 000000005330: D2890052 00010D03
	s_and_b32 s82, s82, 0xffffff                               // 000000005338: 8652FF52 00FFFFFF
	s_cmp_lt_u32 s82, s66                                      // 000000005340: BF0A4252
	s_cselect_b32 s20, s36, s60                                // 000000005344: 85143C24
	v_readlane_b32 s82, v3, 7                                  // 000000005348: D2890052 00010F03
	s_and_b32 s82, s82, 0xffffff                               // 000000005350: 8652FF52 00FFFFFF
	s_cmp_lt_u32 s82, s66                                      // 000000005358: BF0A4252
	s_cselect_b32 s21, s36, s60                                // 00000000535C: 85153C24
	s_mov_b64 exec, s[20:21]                                   // 000000005360: BEFE0114
	global_atomic_add_f32 v6, v59, s[8:9] offset:8             // 000000005364: DD348008 00083B06
	s_mov_b64 exec, s[36:37]                                   // 00000000536C: BEFE0124
	s_branch label_0A60                                        // 000000005370: BF820000

0000000000005374 <label_0A60>:
	s_waitcnt vmcnt(0) expcnt(0) lgkmcnt(0)                    // 000000005374: BF8C0000
	s_endpgm                                                   // 000000005378: BF810000
